;; amdgpu-corpus repo=ROCm/rocFFT kind=compiled arch=gfx950 opt=O3
	.text
	.amdgcn_target "amdgcn-amd-amdhsa--gfx950"
	.amdhsa_code_object_version 6
	.protected	bluestein_single_fwd_len1260_dim1_sp_op_CI_CI ; -- Begin function bluestein_single_fwd_len1260_dim1_sp_op_CI_CI
	.globl	bluestein_single_fwd_len1260_dim1_sp_op_CI_CI
	.p2align	8
	.type	bluestein_single_fwd_len1260_dim1_sp_op_CI_CI,@function
bluestein_single_fwd_len1260_dim1_sp_op_CI_CI: ; @bluestein_single_fwd_len1260_dim1_sp_op_CI_CI
; %bb.0:
	s_load_dwordx4 s[4:7], s[0:1], 0x28
	v_mul_u32_u24_e32 v1, 0x411, v0
	v_mov_b32_e32 v157, 0
	v_add_u32_sdwa v164, s2, v1 dst_sel:DWORD dst_unused:UNUSED_PAD src0_sel:DWORD src1_sel:WORD_1
	v_mov_b32_e32 v165, v157
	s_waitcnt lgkmcnt(0)
	v_cmp_gt_u64_e32 vcc, s[4:5], v[164:165]
	s_and_saveexec_b64 s[2:3], vcc
	s_cbranch_execz .LBB0_28
; %bb.1:
	s_load_dwordx4 s[8:11], s[0:1], 0x18
	s_load_dwordx4 s[12:15], s[0:1], 0x0
	v_mov_b32_e32 v2, s6
	v_mov_b32_e32 v3, s7
	;; [unrolled: 1-line block ×3, first 2 shown]
	s_waitcnt lgkmcnt(0)
	s_load_dwordx4 s[4:7], s[8:9], 0x0
	v_mul_lo_u16_sdwa v1, v1, v4 dst_sel:DWORD dst_unused:UNUSED_PAD src0_sel:WORD_1 src1_sel:DWORD
	v_sub_u16_e32 v156, v0, v1
	v_mov_b32_e32 v35, 0x13b0
	v_lshlrev_b32_e32 v152, 3, v156
	s_waitcnt lgkmcnt(0)
	v_mad_u64_u32 v[0:1], s[2:3], s6, v164, 0
	v_mov_b32_e32 v4, v1
	v_mad_u64_u32 v[4:5], s[2:3], s7, v164, v[4:5]
	v_mov_b32_e32 v1, v4
	v_mad_u64_u32 v[4:5], s[2:3], s4, v156, 0
	v_mov_b32_e32 v6, v5
	v_mad_u64_u32 v[6:7], s[2:3], s5, v156, v[6:7]
	v_mov_b32_e32 v5, v6
	v_lshl_add_u64 v[0:1], v[0:1], 3, v[2:3]
	v_lshl_add_u64 v[2:3], v[4:5], 3, v[0:1]
	v_mad_u64_u32 v[6:7], s[2:3], s4, v35, v[2:3]
	v_mov_b32_e32 v153, v157
	s_mul_i32 s2, s5, 0x13b0
	v_lshl_add_u64 v[0:1], s[12:13], 0, v[152:153]
	v_add_u32_e32 v7, s2, v7
	s_movk_i32 s3, 0x1000
	v_mov_b32_e32 v36, 0xffffee48
	global_load_dwordx2 v[4:5], v[2:3], off
	v_mad_u64_u32 v[10:11], s[6:7], s4, v36, v[6:7]
	global_load_dwordx2 v[6:7], v[6:7], off
	v_add_co_u32_e32 v2, vcc, s3, v0
	global_load_dwordx2 v[176:177], v152, s[12:13]
	s_nop 0
	v_addc_co_u32_e32 v3, vcc, 0, v1, vcc
	s_mul_i32 s3, s5, 0xffffee48
	global_load_dwordx2 v[174:175], v[2:3], off offset:944
	s_sub_i32 s3, s3, s4
	v_add_u32_e32 v11, s3, v11
	global_load_dwordx2 v[8:9], v[10:11], off
	global_load_dwordx2 v[30:31], v152, s[12:13] offset:504
	v_mad_u64_u32 v[12:13], s[6:7], s4, v35, v[10:11]
	v_add_u32_e32 v13, s2, v13
	global_load_dwordx2 v[28:29], v[2:3], off offset:1448
	global_load_dwordx2 v[10:11], v[12:13], off
	v_mad_u64_u32 v[12:13], s[6:7], s4, v36, v[12:13]
	v_add_u32_e32 v13, s3, v13
	global_load_dwordx2 v[14:15], v[12:13], off
	global_load_dwordx2 v[26:27], v152, s[12:13] offset:1008
	s_mov_b64 s[6:7], 0x7e
	v_lshl_add_u64 v[84:85], v[156:157], 0, s[6:7]
	v_mad_u64_u32 v[12:13], s[6:7], s4, v35, v[12:13]
	v_add_u32_e32 v13, s2, v13
	s_load_dwordx4 s[8:11], s[10:11], 0x0
	global_load_dwordx2 v[44:45], v152, s[12:13] offset:1512
	global_load_dwordx2 v[42:43], v152, s[12:13] offset:2016
	global_load_dwordx2 v[180:181], v[2:3], off offset:1952
	global_load_dwordx2 v[40:41], v[2:3], off offset:440
	global_load_dwordx2 v[16:17], v[12:13], off
	v_mad_u64_u32 v[12:13], s[6:7], s4, v36, v[12:13]
	v_add_u32_e32 v13, s3, v13
	global_load_dwordx2 v[18:19], v[12:13], off
	v_mad_u64_u32 v[12:13], s[6:7], s4, v35, v[12:13]
	v_add_u32_e32 v13, s2, v13
	;; [unrolled: 3-line block ×3, first 2 shown]
	global_load_dwordx2 v[22:23], v[12:13], off
	global_load_dwordx2 v[196:197], v[2:3], off offset:2456
	s_movk_i32 s5, 0x2000
	v_add_co_u32_e32 v0, vcc, s5, v0
	v_add_u32_e32 v62, 0x400, v152
	s_nop 0
	v_addc_co_u32_e32 v1, vcc, 0, v1, vcc
	v_add_u32_e32 v63, 0x800, v152
	v_add_u32_e32 v64, 0x2000, v152
	;; [unrolled: 1-line block ×5, first 2 shown]
	v_lshl_add_u64 v[80:81], v[156:157], 0, 63
	v_lshlrev_b32_e32 v66, 1, v156
	v_add_u32_e32 v217, 0x237, v156
	v_lshlrev_b32_e32 v69, 4, v156
	v_lshlrev_b32_e32 v70, 4, v80
	v_add_u32_e32 v211, 0x1b9, v156
	v_accvgpr_write_b32 a18, v70
	v_accvgpr_write_b32 a16, v69
	v_and_b32_e32 v72, 1, v80
	v_cmp_gt_u16_e32 vcc, 42, v156
	s_waitcnt vmcnt(16)
	v_mul_f32_e32 v24, v5, v177
	v_mul_f32_e32 v25, v4, v177
	v_fmac_f32_e32 v24, v4, v176
	v_fma_f32 v25, v5, v176, -v25
	s_waitcnt vmcnt(15)
	v_mul_f32_e32 v4, v7, v175
	v_mul_f32_e32 v5, v6, v175
	v_fmac_f32_e32 v4, v6, v174
	v_fma_f32 v5, v7, v174, -v5
	ds_write_b64 v152, v[4:5] offset:5040
	s_waitcnt vmcnt(13)
	v_mul_f32_e32 v4, v9, v31
	v_mul_f32_e32 v5, v8, v31
	v_fmac_f32_e32 v4, v8, v30
	v_fma_f32 v5, v9, v30, -v5
	v_mad_u64_u32 v[8:9], s[6:7], s4, v35, v[12:13]
	ds_write2_b64 v152, v[24:25], v[4:5] offset1:63
	s_waitcnt vmcnt(11)
	v_mul_f32_e32 v4, v11, v29
	v_mul_f32_e32 v5, v10, v29
	v_add_u32_e32 v9, s2, v9
	v_fmac_f32_e32 v4, v10, v28
	v_fma_f32 v5, v11, v28, -v5
	global_load_dwordx2 v[10:11], v[8:9], off
	global_load_dwordx2 v[194:195], v[2:3], off offset:2960
	v_mad_u64_u32 v[8:9], s[6:7], s4, v36, v[8:9]
	v_add_u32_e32 v9, s3, v9
	global_load_dwordx2 v[12:13], v[8:9], off
	global_load_dwordx2 v[192:193], v152, s[12:13] offset:2520
	v_mad_u64_u32 v[8:9], s[6:7], s4, v35, v[8:9]
	s_waitcnt vmcnt(13)
	v_mul_f32_e32 v6, v15, v27
	v_mul_f32_e32 v7, v14, v27
	v_add_u32_e32 v9, s2, v9
	v_fmac_f32_e32 v6, v14, v26
	v_fma_f32 v7, v15, v26, -v7
	global_load_dwordx2 v[14:15], v[8:9], off
	v_mad_u64_u32 v[8:9], s[6:7], s4, v36, v[8:9]
	v_add_u32_e32 v9, s3, v9
	global_load_dwordx2 v[24:25], v[8:9], off
	global_load_dwordx2 v[190:191], v[2:3], off offset:3464
	v_mad_u64_u32 v[8:9], s[6:7], s4, v35, v[8:9]
	v_accvgpr_write_b32 a8, v26
	v_add_u32_e32 v9, s2, v9
	v_accvgpr_write_b32 a9, v27
	global_load_dwordx2 v[26:27], v[8:9], off
	global_load_dwordx2 v[186:187], v[2:3], off offset:3968
	v_mad_u64_u32 v[2:3], s[6:7], s4, v36, v[8:9]
	v_add_u32_e32 v3, s3, v3
	global_load_dwordx2 v[188:189], v152, s[12:13] offset:3024
	global_load_dwordx2 v[8:9], v[2:3], off
	global_load_dwordx2 v[184:185], v152, s[12:13] offset:3528
	v_mad_u64_u32 v[2:3], s[6:7], s4, v35, v[2:3]
	v_accvgpr_write_b32 a12, v28
	v_add_u32_e32 v3, s2, v3
	v_accvgpr_write_b32 a13, v29
	global_load_dwordx2 v[28:29], v[2:3], off
	v_mad_u64_u32 v[2:3], s[6:7], s4, v36, v[2:3]
	v_accvgpr_write_b32 a14, v30
	v_add_u32_e32 v3, s3, v3
	v_accvgpr_write_b32 a15, v31
	global_load_dwordx2 v[182:183], v[0:1], off offset:376
	global_load_dwordx2 v[30:31], v[2:3], off
	global_load_dwordx2 v[178:179], v152, s[12:13] offset:4032
	v_mad_u64_u32 v[2:3], s[6:7], s4, v35, v[2:3]
	v_add_u32_e32 v3, s2, v3
	global_load_dwordx2 v[32:33], v[2:3], off
	global_load_dwordx2 v[48:49], v[0:1], off offset:880
	v_mad_u64_u32 v[2:3], s[6:7], s4, v36, v[2:3]
	v_add_u32_e32 v3, s3, v3
	global_load_dwordx2 v[36:37], v[2:3], off
	v_mad_u64_u32 v[2:3], s[4:5], s4, v35, v[2:3]
	v_add_u32_e32 v3, s2, v3
	global_load_dwordx2 v[38:39], v[2:3], off
	global_load_dwordx2 v[46:47], v[0:1], off offset:1384
	s_waitcnt vmcnt(25)
	v_mul_f32_e32 v34, v17, v181
	s_waitcnt vmcnt(24)
	v_mul_f32_e32 v2, v19, v45
	v_mul_f32_e32 v1, v18, v45
	v_fmac_f32_e32 v34, v16, v180
	v_mul_f32_e32 v16, v16, v181
	v_fmac_f32_e32 v2, v18, v44
	v_fma_f32 v3, v19, v44, -v1
	s_waitcnt vmcnt(21)
	v_mul_f32_e32 v1, v20, v197
	v_fma_f32 v35, v17, v180, -v16
	v_add_u32_e32 v0, 0x1000, v152
	ds_write2_b64 v152, v[6:7], v[2:3] offset0:126 offset1:189
	v_fma_f32 v3, v21, v196, -v1
	v_mul_f32_e32 v1, v22, v43
	ds_write2_b64 v0, v[4:5], v[34:35] offset0:181 offset1:244
	v_mul_f32_e32 v2, v21, v197
	v_fma_f32 v5, v23, v42, -v1
	v_fmac_f32_e32 v2, v20, v196
	v_mul_f32_e32 v4, v23, v43
	v_fmac_f32_e32 v4, v22, v42
	v_accvgpr_write_b32 a4, v44
	v_accvgpr_write_b32 a2, v42
	;; [unrolled: 1-line block ×6, first 2 shown]
	s_mov_b64 s[2:3], 0xbd
	v_lshl_add_u64 v[82:83], v[156:157], 0, s[2:3]
	s_waitcnt vmcnt(19)
	v_mul_f32_e32 v6, v11, v195
	v_mul_f32_e32 v1, v10, v195
	v_fmac_f32_e32 v6, v10, v194
	v_fma_f32 v7, v11, v194, -v1
	v_add_u32_e32 v1, 0x1800, v152
	ds_write2_b64 v1, v[2:3], v[6:7] offset0:51 offset1:114
	s_waitcnt vmcnt(17)
	v_mul_f32_e32 v2, v13, v193
	v_mul_f32_e32 v3, v12, v193
	v_fmac_f32_e32 v2, v12, v192
	v_fma_f32 v3, v13, v192, -v3
	ds_write2_b64 v62, v[4:5], v[2:3] offset0:124 offset1:187
	s_mov_b64 s[2:3], 0xfc
	v_lshl_add_u64 v[90:91], v[156:157], 0, s[2:3]
	s_mov_b64 s[2:3], 0x13b
	v_lshl_add_u64 v[88:89], v[156:157], 0, s[2:3]
	s_mov_b64 s[2:3], 0x17a
	s_waitcnt vmcnt(14)
	v_mul_f32_e32 v2, v15, v191
	v_mul_f32_e32 v3, v14, v191
	v_fmac_f32_e32 v2, v14, v190
	v_fma_f32 v3, v15, v190, -v3
	v_lshl_add_u64 v[86:87], v[156:157], 0, s[2:3]
	v_and_b32_e32 v71, 1, v82
	s_waitcnt vmcnt(12)
	v_mul_f32_e32 v6, v27, v187
	v_mul_f32_e32 v7, v26, v187
	v_fmac_f32_e32 v6, v26, v186
	v_fma_f32 v7, v27, v186, -v7
	s_waitcnt vmcnt(11)
	v_mul_f32_e32 v4, v25, v189
	v_mul_f32_e32 v5, v24, v189
	ds_write2_b64 v1, v[2:3], v[6:7] offset0:177 offset1:240
	s_waitcnt vmcnt(9)
	v_mul_f32_e32 v2, v9, v185
	v_mul_f32_e32 v3, v8, v185
	v_fmac_f32_e32 v4, v24, v188
	v_fma_f32 v5, v25, v188, -v5
	v_fmac_f32_e32 v2, v8, v184
	v_fma_f32 v3, v9, v184, -v3
	ds_write2_b64 v63, v[4:5], v[2:3] offset0:122 offset1:185
	s_movk_i32 s2, 0x7c
	s_movk_i32 s3, 0x2fc
	s_load_dwordx2 s[6:7], s[0:1], 0x38
	s_waitcnt vmcnt(7)
	v_mul_f32_e32 v2, v29, v183
	v_mul_f32_e32 v3, v28, v183
	v_fmac_f32_e32 v2, v28, v182
	v_fma_f32 v3, v29, v182, -v3
	s_waitcnt vmcnt(5)
	v_mul_f32_e32 v4, v31, v179
	s_waitcnt vmcnt(3)
	v_mul_f32_e32 v6, v33, v49
	v_mul_f32_e32 v7, v32, v49
	v_fmac_f32_e32 v6, v32, v48
	v_fma_f32 v7, v33, v48, -v7
	v_mul_f32_e32 v5, v30, v179
	ds_write2_b64 v64, v[2:3], v[6:7] offset0:47 offset1:110
	s_waitcnt vmcnt(2)
	v_mul_f32_e32 v2, v37, v41
	v_mul_f32_e32 v3, v36, v41
	v_fmac_f32_e32 v4, v30, v178
	v_fma_f32 v5, v31, v178, -v5
	v_fmac_f32_e32 v2, v36, v40
	v_fma_f32 v3, v37, v40, -v3
	ds_write2_b64 v65, v[4:5], v[2:3] offset0:120 offset1:183
	s_waitcnt vmcnt(0)
	v_mul_f32_e32 v2, v39, v47
	v_mul_f32_e32 v3, v38, v47
	v_fmac_f32_e32 v2, v38, v46
	v_fma_f32 v3, v39, v46, -v3
	ds_write_b64 v152, v[2:3] offset:9576
	s_waitcnt lgkmcnt(0)
	; wave barrier
	s_waitcnt lgkmcnt(0)
	ds_read2_b64 v[2:5], v152 offset1:63
	ds_read2_b64 v[6:9], v0 offset0:118 offset1:181
	ds_read2_b64 v[14:17], v152 offset0:126 offset1:189
	;; [unrolled: 1-line block ×9, first 2 shown]
	v_accvgpr_write_b32 a10, v48
	v_accvgpr_write_b32 a11, v49
	;; [unrolled: 1-line block ×3, first 2 shown]
	s_waitcnt lgkmcnt(8)
	v_pk_add_f32 v[12:13], v[2:3], v[6:7] neg_lo:[0,1] neg_hi:[0,1]
	v_pk_add_f32 v[6:7], v[4:5], v[8:9] neg_lo:[0,1] neg_hi:[0,1]
	s_waitcnt lgkmcnt(6)
	v_pk_add_f32 v[24:25], v[14:15], v[18:19] neg_lo:[0,1] neg_hi:[0,1]
	v_pk_add_f32 v[18:19], v[16:17], v[20:21] neg_lo:[0,1] neg_hi:[0,1]
	;; [unrolled: 3-line block ×3, first 2 shown]
	s_waitcnt lgkmcnt(2)
	v_pk_add_f32 v[48:49], v[38:39], v[42:43] neg_lo:[0,1] neg_hi:[0,1]
	v_accvgpr_write_b32 a7, v47
	v_pk_fma_f32 v[10:11], v[2:3], 2.0, v[12:13] op_sel_hi:[1,0,1] neg_lo:[0,0,1] neg_hi:[0,0,1]
	v_pk_fma_f32 v[4:5], v[4:5], 2.0, v[6:7] op_sel_hi:[1,0,1] neg_lo:[0,0,1] neg_hi:[0,0,1]
	v_lshlrev_b32_e32 v3, 4, v84
	v_pk_fma_f32 v[22:23], v[14:15], 2.0, v[24:25] op_sel_hi:[1,0,1] neg_lo:[0,0,1] neg_hi:[0,0,1]
	v_lshlrev_b32_e32 v9, 4, v82
	;; [unrolled: 2-line block ×5, first 2 shown]
	v_pk_fma_f32 v[46:47], v[38:39], 2.0, v[48:49] op_sel_hi:[1,0,1] neg_lo:[0,0,1] neg_hi:[0,0,1]
	v_pk_add_f32 v[42:43], v[40:41], v[44:45] neg_lo:[0,1] neg_hi:[0,1]
	s_waitcnt lgkmcnt(0)
	v_pk_add_f32 v[60:61], v[50:51], v[54:55] neg_lo:[0,1] neg_hi:[0,1]
	v_pk_add_f32 v[54:55], v[52:53], v[56:57] neg_lo:[0,1] neg_hi:[0,1]
	v_pk_fma_f32 v[40:41], v[40:41], 2.0, v[42:43] op_sel_hi:[1,0,1] neg_lo:[0,0,1] neg_hi:[0,0,1]
	v_lshlrev_b32_e32 v2, 3, v66
	v_pk_fma_f32 v[58:59], v[50:51], 2.0, v[60:61] op_sel_hi:[1,0,1] neg_lo:[0,0,1] neg_hi:[0,0,1]
	v_pk_fma_f32 v[52:53], v[52:53], 2.0, v[54:55] op_sel_hi:[1,0,1] neg_lo:[0,0,1] neg_hi:[0,0,1]
	s_waitcnt lgkmcnt(0)
	; wave barrier
	ds_write_b128 v69, v[10:13]
	ds_write_b128 v70, v[4:7]
	;; [unrolled: 1-line block ×7, first 2 shown]
	ds_write_b128 v69, v[40:43] offset:7056
	ds_write_b128 v2, v[58:61] offset:8064
	v_and_b32_e32 v60, 1, v217
	v_and_b32_e32 v61, 1, v88
	v_accvgpr_write_b32 a17, v3
	ds_write_b128 v69, v[52:55] offset:9072
	v_lshlrev_b32_e32 v2, 3, v60
	v_lshlrev_b32_e32 v3, 3, v61
	v_and_b32_e32 v69, 1, v211
	v_and_b32_e32 v70, 1, v156
	s_waitcnt lgkmcnt(0)
	; wave barrier
	s_waitcnt lgkmcnt(0)
	v_lshlrev_b32_e32 v4, 3, v69
	global_load_dwordx2 v[202:203], v3, s[14:15]
	global_load_dwordx2 v[204:205], v4, s[14:15]
	global_load_dword v170, v2, s[14:15] offset:4
	global_load_dwordx2 v[200:201], v2, s[14:15]
	v_lshlrev_b32_e32 v2, 3, v70
	global_load_dwordx2 v[198:199], v2, s[14:15]
	v_lshlrev_b32_e32 v2, 3, v71
	;; [unrolled: 2-line block ×3, first 2 shown]
	global_load_dword v210, v2, s[14:15]
	ds_read2_b64 v[2:5], v64 offset0:110 offset1:173
	v_accvgpr_write_b32 a20, v9
	v_accvgpr_write_b32 a19, v8
	ds_read2_b64 v[6:9], v68 offset0:112 offset1:175
	v_accvgpr_write_b32 a22, v15
	v_accvgpr_write_b32 a21, v14
	s_movk_i32 s0, 0x7fc
	s_waitcnt vmcnt(6)
	v_mov_b32_e32 v172, v203
	s_waitcnt vmcnt(5)
	v_mov_b32_e32 v220, v205
	s_waitcnt vmcnt(4) lgkmcnt(1)
	v_pk_mul_f32 v[10:11], v[4:5], v[170:171] op_sel_hi:[1,0]
	s_waitcnt vmcnt(1)
	v_mov_b32_e32 v216, v215
	v_pk_fma_f32 v[22:23], v[4:5], v[200:201], v[10:11] op_sel:[0,0,1] op_sel_hi:[1,1,0] neg_lo:[0,0,1] neg_hi:[0,0,1]
	v_pk_fma_f32 v[24:25], v[4:5], v[200:201], v[10:11] op_sel:[0,0,1] op_sel_hi:[1,0,0]
	v_pk_mul_f32 v[4:5], v[2:3], v[198:199] op_sel:[0,1]
	s_waitcnt lgkmcnt(0)
	v_pk_mul_f32 v[10:11], v[8:9], v[220:221] op_sel_hi:[1,0]
	v_pk_fma_f32 v[26:27], v[2:3], v[198:199], v[4:5] op_sel:[0,0,1] op_sel_hi:[1,1,0] neg_lo:[0,0,1] neg_hi:[0,0,1]
	v_pk_fma_f32 v[28:29], v[2:3], v[198:199], v[4:5] op_sel:[0,0,1] op_sel_hi:[1,0,0]
	ds_read2_b64 v[2:5], v1 offset0:114 offset1:177
	v_pk_fma_f32 v[30:31], v[8:9], v[204:205], v[10:11] op_sel:[0,0,1] op_sel_hi:[1,1,0] neg_lo:[0,0,1] neg_hi:[0,0,1]
	v_pk_fma_f32 v[32:33], v[8:9], v[204:205], v[10:11] op_sel:[0,0,1] op_sel_hi:[1,0,0]
	v_pk_mul_f32 v[8:9], v[6:7], v[198:199] op_sel:[0,1]
	v_mov_b32_e32 v27, v29
	v_pk_fma_f32 v[34:35], v[6:7], v[198:199], v[8:9] op_sel:[0,0,1] op_sel_hi:[1,1,0] neg_lo:[0,0,1] neg_hi:[0,0,1]
	v_pk_fma_f32 v[36:37], v[6:7], v[198:199], v[8:9] op_sel:[0,0,1] op_sel_hi:[1,0,0]
	s_waitcnt lgkmcnt(0)
	v_pk_mul_f32 v[6:7], v[4:5], v[172:173] op_sel_hi:[1,0]
	v_pk_mul_f32 v[8:9], v[2:3], v[198:199] op_sel:[0,1]
	v_pk_fma_f32 v[38:39], v[4:5], v[202:203], v[6:7] op_sel:[0,0,1] op_sel_hi:[1,1,0] neg_lo:[0,0,1] neg_hi:[0,0,1]
	v_pk_fma_f32 v[40:41], v[4:5], v[202:203], v[6:7] op_sel:[0,0,1] op_sel_hi:[1,0,0]
	ds_read2_b64 v[4:7], v67 offset0:116 offset1:179
	v_pk_fma_f32 v[42:43], v[2:3], v[198:199], v[8:9] op_sel:[0,0,1] op_sel_hi:[1,1,0] neg_lo:[0,0,1] neg_hi:[0,0,1]
	v_pk_fma_f32 v[44:45], v[2:3], v[198:199], v[8:9] op_sel:[0,0,1] op_sel_hi:[1,0,0]
	ds_read2_b64 v[8:11], v0 offset0:118 offset1:181
	v_mov_b32_e32 v43, v45
	s_waitcnt lgkmcnt(1)
	v_pk_mul_f32 v[2:3], v[6:7], v[216:217] op_sel_hi:[1,0]
	v_mov_b32_e32 v39, v41
	v_pk_fma_f32 v[46:47], v[6:7], v[214:215], v[2:3] op_sel:[0,0,1] op_sel_hi:[1,1,0] neg_lo:[0,0,1] neg_hi:[0,0,1]
	v_pk_fma_f32 v[48:49], v[6:7], v[214:215], v[2:3] op_sel:[0,0,1] op_sel_hi:[1,0,0]
	v_pk_mul_f32 v[2:3], v[4:5], v[198:199] op_sel:[0,1]
	v_mov_b32_e32 v47, v49
	v_pk_fma_f32 v[50:51], v[4:5], v[198:199], v[2:3] op_sel:[0,0,1] op_sel_hi:[1,1,0] neg_lo:[0,0,1] neg_hi:[0,0,1]
	v_pk_fma_f32 v[52:53], v[4:5], v[198:199], v[2:3] op_sel:[0,0,1] op_sel_hi:[1,0,0]
	s_waitcnt lgkmcnt(0)
	v_pk_mul_f32 v[2:3], v[10:11], v[200:201] op_sel:[0,1]
	v_mov_b32_e32 v51, v53
	s_waitcnt vmcnt(0)
	v_pk_fma_f32 v[54:55], v[10:11], v[210:211], v[2:3] op_sel:[0,0,1] op_sel_hi:[1,1,0] neg_lo:[0,0,1] neg_hi:[0,0,1]
	v_pk_fma_f32 v[56:57], v[10:11], v[210:211], v[2:3] op_sel:[0,0,1] op_sel_hi:[1,0,0]
	v_pk_mul_f32 v[2:3], v[8:9], v[198:199] op_sel:[0,1]
	v_mov_b32_e32 v55, v57
	v_pk_fma_f32 v[6:7], v[8:9], v[198:199], v[2:3] op_sel:[0,0,1] op_sel_hi:[1,1,0] neg_lo:[0,0,1] neg_hi:[0,0,1]
	v_pk_fma_f32 v[8:9], v[8:9], v[198:199], v[2:3] op_sel:[0,0,1] op_sel_hi:[1,0,0]
	ds_read2_b64 v[2:5], v152 offset1:63
	v_mov_b32_e32 v7, v9
	v_and_or_b32 v8, v66, s2, v70
	v_lshlrev_b32_e32 v23, 3, v8
	v_accvgpr_write_b32 a30, v23
	s_waitcnt lgkmcnt(0)
	v_pk_add_f32 v[58:59], v[2:3], v[6:7] neg_lo:[0,1] neg_hi:[0,1]
	ds_read2_b64 v[6:9], v65 offset0:120 offset1:183
	ds_read2_b64 v[10:13], v63 offset0:122 offset1:185
	;; [unrolled: 1-line block ×4, first 2 shown]
	v_pk_fma_f32 v[2:3], v[2:3], 2.0, v[58:59] op_sel_hi:[1,0,1] neg_lo:[0,0,1] neg_hi:[0,0,1]
	s_waitcnt lgkmcnt(0)
	; wave barrier
	s_waitcnt lgkmcnt(0)
	ds_write2_b64 v23, v[2:3], v[58:59] offset1:2
	s_movk_i32 s2, 0xfc
	v_lshlrev_b32_e32 v23, 1, v80
	v_pk_add_f32 v[2:3], v[4:5], v[54:55] neg_lo:[0,1] neg_hi:[0,1]
	v_and_or_b32 v23, v23, s2, v72
	v_pk_fma_f32 v[4:5], v[4:5], 2.0, v[2:3] op_sel_hi:[1,0,1] neg_lo:[0,0,1] neg_hi:[0,0,1]
	v_lshlrev_b32_e32 v23, 3, v23
	ds_write2_b64 v23, v[4:5], v[2:3] offset1:2
	s_movk_i32 s2, 0x1fc
	v_lshlrev_b32_e32 v2, 1, v84
	v_and_or_b32 v2, v2, s2, v70
	v_accvgpr_write_b32 a31, v23
	v_lshlrev_b32_e32 v23, 3, v2
	v_pk_add_f32 v[2:3], v[18:19], v[50:51] neg_lo:[0,1] neg_hi:[0,1]
	v_add_u32_e32 v203, 0x3f0, v66
	v_pk_fma_f32 v[4:5], v[18:19], 2.0, v[2:3] op_sel_hi:[1,0,1] neg_lo:[0,0,1] neg_hi:[0,0,1]
	v_lshlrev_b32_e32 v18, 1, v82
	ds_write2_b64 v23, v[4:5], v[2:3] offset1:2
	v_pk_add_f32 v[2:3], v[20:21], v[46:47] neg_lo:[0,1] neg_hi:[0,1]
	v_and_or_b32 v18, v18, s2, v71
	v_pk_fma_f32 v[4:5], v[20:21], 2.0, v[2:3] op_sel_hi:[1,0,1] neg_lo:[0,0,1] neg_hi:[0,0,1]
	v_lshlrev_b32_e32 v18, 3, v18
	ds_write2_b64 v18, v[4:5], v[2:3] offset1:2
	s_movk_i32 s2, 0x3fc
	v_lshlrev_b32_e32 v2, 1, v90
	v_and_or_b32 v2, v2, s2, v70
	v_accvgpr_write_b32 a33, v18
	v_lshlrev_b32_e32 v18, 3, v2
	v_pk_add_f32 v[2:3], v[14:15], v[42:43] neg_lo:[0,1] neg_hi:[0,1]
	v_accvgpr_write_b32 a32, v23
	v_pk_fma_f32 v[4:5], v[14:15], 2.0, v[2:3] op_sel_hi:[1,0,1] neg_lo:[0,0,1] neg_hi:[0,0,1]
	v_lshlrev_b32_e32 v14, 1, v88
	ds_write2_b64 v18, v[4:5], v[2:3] offset1:2
	v_pk_add_f32 v[2:3], v[16:17], v[38:39] neg_lo:[0,1] neg_hi:[0,1]
	v_and_or_b32 v14, v14, s3, v61
	v_pk_fma_f32 v[4:5], v[16:17], 2.0, v[2:3] op_sel_hi:[1,0,1] neg_lo:[0,0,1] neg_hi:[0,0,1]
	v_lshlrev_b32_e32 v14, 3, v14
	ds_write2_b64 v14, v[4:5], v[2:3] offset1:2
	v_pk_add_f32 v[2:3], v[6:7], v[26:27] neg_lo:[0,1] neg_hi:[0,1]
	v_mov_b32_e32 v23, v25
	v_pk_fma_f32 v[4:5], v[6:7], 2.0, v[2:3] op_sel_hi:[1,0,1] neg_lo:[0,0,1] neg_hi:[0,0,1]
	v_lshlrev_b32_e32 v6, 1, v86
	v_lshlrev_b32_e32 v7, 1, v211
	v_and_or_b32 v6, v6, s2, v70
	v_lshlrev_b32_e32 v15, 3, v6
	v_and_or_b32 v6, v7, s2, v69
	v_mov_b32_e32 v31, v33
	v_lshlrev_b32_e32 v16, 3, v6
	v_and_or_b32 v6, v203, s0, v70
	v_pk_add_f32 v[54:55], v[8:9], v[22:23] neg_lo:[0,1] neg_hi:[0,1]
	v_lshlrev_b32_e32 v17, 3, v6
	v_pk_add_f32 v[6:7], v[12:13], v[30:31] neg_lo:[0,1] neg_hi:[0,1]
	v_mov_b32_e32 v35, v37
	v_pk_fma_f32 v[52:53], v[8:9], 2.0, v[54:55] op_sel_hi:[1,0,1] neg_lo:[0,0,1] neg_hi:[0,0,1]
	v_pk_fma_f32 v[8:9], v[12:13], 2.0, v[6:7] op_sel_hi:[1,0,1] neg_lo:[0,0,1] neg_hi:[0,0,1]
	v_pk_add_f32 v[12:13], v[10:11], v[34:35] neg_lo:[0,1] neg_hi:[0,1]
	v_accvgpr_write_b32 a35, v14
	v_lshlrev_b32_e32 v14, 1, v217
	v_pk_fma_f32 v[10:11], v[10:11], 2.0, v[12:13] op_sel_hi:[1,0,1] neg_lo:[0,0,1] neg_hi:[0,0,1]
	s_movk_i32 s0, 0x4fc
	ds_write2_b64 v15, v[10:11], v[12:13] offset1:2
	ds_write2_b64 v16, v[8:9], v[6:7] offset1:2
	;; [unrolled: 1-line block ×3, first 2 shown]
	v_and_or_b32 v2, v14, s0, v60
	v_lshlrev_b32_e32 v2, 3, v2
	v_accvgpr_write_b32 a34, v18
	v_accvgpr_write_b32 a37, v16
	;; [unrolled: 1-line block ×3, first 2 shown]
	ds_write2_b64 v2, v[52:53], v[54:55] offset1:2
	s_waitcnt lgkmcnt(0)
	; wave barrier
	s_waitcnt lgkmcnt(0)
	ds_read2_b64 v[48:51], v63 offset0:164 offset1:227
	ds_read2_b64 v[44:47], v1 offset0:72 offset1:135
	;; [unrolled: 1-line block ×7, first 2 shown]
	ds_read2_b64 v[40:43], v152 offset1:63
	ds_read2_b64 v[32:35], v152 offset0:126 offset1:189
	v_accvgpr_write_b32 a36, v15
	v_accvgpr_write_b32 a39, v2
	v_cmp_lt_u16_e64 s[0:1], 41, v156
                                        ; implicit-def: $vgpr56
                                        ; implicit-def: $vgpr58
	s_and_saveexec_b64 s[2:3], vcc
	s_cbranch_execz .LBB0_3
; %bb.2:
	ds_read_b64 v[56:57], v152 offset:9744
	ds_read_b64 v[52:53], v152 offset:3024
	;; [unrolled: 1-line block ×3, first 2 shown]
	s_waitcnt lgkmcnt(2)
	v_mov_b32_e32 v58, v57
.LBB0_3:
	s_or_b64 exec, exec, s[2:3]
	v_and_b32_e32 v64, 3, v156
	v_lshlrev_b32_e32 v0, 4, v64
	v_and_b32_e32 v65, 3, v80
	global_load_dwordx4 v[4:7], v0, s[14:15] offset:16
	v_lshlrev_b32_e32 v0, 4, v65
	v_and_b32_e32 v66, 3, v88
	v_and_b32_e32 v67, 3, v84
	global_load_dword v222, v0, s[14:15] offset:16
	v_lshlrev_b32_e32 v12, 4, v66
	v_lshlrev_b32_e32 v0, 4, v67
	global_load_dwordx2 v[212:213], v12, s[14:15] offset:16
	global_load_dwordx2 v[224:225], v12, s[14:15] offset:20
	;; [unrolled: 1-line block ×3, first 2 shown]
	s_mov_b32 s2, 0x3f5db3d7
	global_load_dwordx4 v[0:3], v0, s[14:15] offset:16
	s_waitcnt vmcnt(0)
	v_mov_b32_e32 v228, v3
	v_mov_b32_e32 v3, v2
	;; [unrolled: 1-line block ×3, first 2 shown]
	v_and_b32_e32 v1, 3, v82
	v_lshlrev_b32_e32 v8, 4, v1
	global_load_dwordx4 v[8:11], v8, s[14:15] offset:16
	s_nop 0
	global_load_dword v226, v12, s[14:15] offset:28
	v_and_b32_e32 v12, 3, v86
	v_accvgpr_write_b32 a23, v12
	v_lshlrev_b32_e32 v12, 4, v12
	global_load_dwordx4 v[12:15], v12, s[14:15] offset:16
	s_waitcnt lgkmcnt(0)
	; wave barrier
	s_waitcnt vmcnt(0) lgkmcnt(0)
	v_pk_mul_f32 v[60:61], v[54:55], v[12:13] op_sel:[1,0]
	s_nop 0
	v_pk_fma_f32 v[62:63], v[54:55], v[12:13], v[60:61] op_sel:[0,0,1] op_sel_hi:[1,1,0] neg_lo:[0,0,1] neg_hi:[0,0,1]
	v_pk_fma_f32 v[54:55], v[54:55], v[12:13], v[60:61] op_sel:[0,0,1] op_sel_hi:[0,1,0]
	v_mov_b32_e32 v63, v55
	v_pk_mul_f32 v[54:55], v[58:59], v[14:15] op_sel_hi:[0,1]
	v_pk_fma_f32 v[58:59], v[56:57], v[14:15], v[54:55] op_sel:[0,0,1] op_sel_hi:[1,1,0] neg_lo:[0,0,1] neg_hi:[0,0,1]
	v_pk_fma_f32 v[54:55], v[56:57], v[14:15], v[54:55] op_sel:[0,0,1] op_sel_hi:[0,1,0]
	v_mov_b32_e32 v59, v55
	v_pk_add_f32 v[54:55], v[52:53], v[62:63]
	s_nop 0
	v_pk_add_f32 v[92:93], v[54:55], v[58:59]
	v_pk_add_f32 v[54:55], v[62:63], v[58:59]
	s_nop 0
	v_pk_fma_f32 v[52:53], v[54:55], 0.5, v[52:53] op_sel_hi:[1,0,1] neg_lo:[1,0,0] neg_hi:[1,0,0]
	v_pk_add_f32 v[54:55], v[62:63], v[58:59] neg_lo:[0,1] neg_hi:[0,1]
	s_nop 0
	v_pk_mul_f32 v[54:55], v[54:55], s[2:3] op_sel_hi:[1,0]
	s_nop 0
	v_pk_add_f32 v[94:95], v[52:53], v[54:55] op_sel:[0,1] op_sel_hi:[1,0] neg_lo:[0,1] neg_hi:[0,1]
	v_pk_add_f32 v[96:97], v[54:55], v[52:53] op_sel:[1,0] op_sel_hi:[0,1]
	v_lshrrev_b32_e32 v52, 2, v156
	v_mul_u32_u24_e32 v52, 12, v52
	v_or_b32_e32 v52, v52, v64
	v_lshlrev_b32_e32 v58, 3, v52
	v_pk_mul_f32 v[52:53], v[48:49], v[4:5] op_sel:[0,1]
	v_accvgpr_write_b32 a40, v58
	v_pk_fma_f32 v[54:55], v[48:49], v[4:5], v[52:53] op_sel:[0,0,1] op_sel_hi:[1,1,0] neg_lo:[0,0,1] neg_hi:[0,0,1]
	v_pk_fma_f32 v[48:49], v[48:49], v[4:5], v[52:53] op_sel:[0,0,1] op_sel_hi:[1,0,0]
	s_nop 0
	v_mov_b32_e32 v48, v7
	v_pk_mul_f32 v[52:53], v[44:45], v[48:49] op_sel_hi:[1,0]
	v_mov_b32_e32 v55, v49
	v_pk_fma_f32 v[56:57], v[44:45], v[6:7], v[52:53] op_sel:[0,0,1] op_sel_hi:[1,1,0] neg_lo:[0,0,1] neg_hi:[0,0,1]
	v_pk_fma_f32 v[44:45], v[44:45], v[6:7], v[52:53] op_sel:[0,0,1] op_sel_hi:[1,0,0]
	s_nop 0
	v_mov_b32_e32 v57, v45
	v_pk_add_f32 v[52:53], v[54:55], v[56:57]
	v_pk_add_f32 v[44:45], v[40:41], v[54:55]
	v_pk_fma_f32 v[40:41], v[52:53], 0.5, v[40:41] op_sel_hi:[1,0,1] neg_lo:[1,0,0] neg_hi:[1,0,0]
	v_pk_add_f32 v[52:53], v[54:55], v[56:57] neg_lo:[0,1] neg_hi:[0,1]
	v_pk_add_f32 v[44:45], v[44:45], v[56:57]
	v_pk_mul_f32 v[52:53], v[52:53], s[2:3] op_sel_hi:[1,0]
	s_nop 0
	v_pk_add_f32 v[54:55], v[40:41], v[52:53] op_sel:[0,1] op_sel_hi:[1,0]
	v_pk_add_f32 v[40:41], v[40:41], v[52:53] op_sel:[0,1] op_sel_hi:[1,0] neg_lo:[0,1] neg_hi:[0,1]
	v_mov_b32_e32 v52, v54
	v_mov_b32_e32 v53, v41
	;; [unrolled: 1-line block ×3, first 2 shown]
	ds_write_b64 v58, v[40:41] offset:64
	v_lshrrev_b32_e32 v40, 2, v80
	v_mul_u32_u24_e32 v40, 12, v40
	v_or_b32_e32 v40, v40, v65
	v_lshlrev_b32_e32 v49, 3, v40
	v_pk_mul_f32 v[40:41], v[50:51], v[212:213] op_sel:[0,1]
	ds_write2_b64 v58, v[44:45], v[52:53] offset1:4
	v_pk_fma_f32 v[44:45], v[50:51], v[222:223], v[40:41] op_sel:[0,0,1] op_sel_hi:[1,1,0] neg_lo:[0,0,1] neg_hi:[0,0,1]
	v_pk_fma_f32 v[40:41], v[50:51], v[222:223], v[40:41] op_sel:[0,0,1] op_sel_hi:[1,0,0]
	v_pk_mul_f32 v[50:51], v[46:47], v[208:209] op_sel:[0,1]
	v_mov_b32_e32 v40, v225
	v_mov_b32_e32 v45, v41
	v_pk_fma_f32 v[40:41], v[46:47], v[40:41], v[50:51] op_sel:[0,0,1] op_sel_hi:[1,1,0] neg_lo:[0,0,1] neg_hi:[0,0,1]
	v_pk_fma_f32 v[46:47], v[46:47], v[224:225], v[50:51] op_sel:[0,1,1] op_sel_hi:[1,1,0]
	v_accvgpr_write_b32 a41, v49
	v_mov_b32_e32 v41, v47
	v_pk_add_f32 v[46:47], v[42:43], v[44:45]
	v_pk_add_f32 v[50:51], v[44:45], v[40:41]
	;; [unrolled: 1-line block ×3, first 2 shown]
	v_pk_add_f32 v[40:41], v[44:45], v[40:41] neg_lo:[0,1] neg_hi:[0,1]
	v_pk_fma_f32 v[42:43], v[50:51], 0.5, v[42:43] op_sel_hi:[1,0,1] neg_lo:[1,0,0] neg_hi:[1,0,0]
	v_pk_mul_f32 v[40:41], v[40:41], s[2:3] op_sel_hi:[1,0]
	s_nop 0
	v_pk_add_f32 v[44:45], v[42:43], v[40:41] op_sel:[0,1] op_sel_hi:[1,0]
	v_pk_add_f32 v[40:41], v[42:43], v[40:41] op_sel:[0,1] op_sel_hi:[1,0] neg_lo:[0,1] neg_hi:[0,1]
	v_mov_b32_e32 v42, v44
	v_mov_b32_e32 v43, v41
	;; [unrolled: 1-line block ×3, first 2 shown]
	ds_write_b64 v49, v[40:41] offset:64
	v_lshrrev_b32_e32 v40, 2, v84
	v_mul_u32_u24_e32 v40, 12, v40
	v_or_b32_e32 v40, v40, v67
	v_lshlrev_b32_e32 v44, 3, v40
	v_pk_mul_f32 v[40:41], v[36:37], v[2:3] op_sel_hi:[1,0]
	ds_write2_b64 v49, v[46:47], v[42:43] offset1:4
	v_pk_fma_f32 v[42:43], v[36:37], v[0:1], v[40:41] op_sel:[0,0,1] op_sel_hi:[1,1,0] neg_lo:[0,0,1] neg_hi:[0,0,1]
	v_pk_fma_f32 v[36:37], v[36:37], v[0:1], v[40:41] op_sel:[0,0,1] op_sel_hi:[1,0,0]
	v_pk_mul_f32 v[40:41], v[28:29], v[228:229] op_sel_hi:[1,0]
	v_mov_b32_e32 v36, v3
	v_mov_b32_e32 v43, v37
	v_pk_fma_f32 v[36:37], v[28:29], v[36:37], v[40:41] op_sel:[0,0,1] op_sel_hi:[1,1,0] neg_lo:[0,0,1] neg_hi:[0,0,1]
	v_pk_fma_f32 v[28:29], v[28:29], v[2:3], v[40:41] op_sel:[0,1,1] op_sel_hi:[1,1,0]
	v_accvgpr_write_b32 a43, v44
	v_mov_b32_e32 v37, v29
	v_pk_add_f32 v[28:29], v[32:33], v[42:43]
	v_pk_add_f32 v[40:41], v[42:43], v[36:37]
	;; [unrolled: 1-line block ×3, first 2 shown]
	v_pk_add_f32 v[36:37], v[42:43], v[36:37] neg_lo:[0,1] neg_hi:[0,1]
	v_pk_fma_f32 v[32:33], v[40:41], 0.5, v[32:33] op_sel_hi:[1,0,1] neg_lo:[1,0,0] neg_hi:[1,0,0]
	v_pk_mul_f32 v[36:37], v[36:37], s[2:3] op_sel_hi:[1,0]
	s_nop 0
	v_pk_add_f32 v[40:41], v[32:33], v[36:37] op_sel:[0,1] op_sel_hi:[1,0]
	v_pk_add_f32 v[32:33], v[32:33], v[36:37] op_sel:[0,1] op_sel_hi:[1,0] neg_lo:[0,1] neg_hi:[0,1]
	v_mov_b32_e32 v36, v40
	v_mov_b32_e32 v37, v33
	ds_write2_b64 v44, v[28:29], v[36:37] offset1:4
	v_lshrrev_b32_e32 v28, 2, v82
	v_mul_u32_u24_e32 v28, 12, v28
	v_mov_b32_e32 v33, v41
	v_or_b32_e32 v1, v28, v1
	v_pk_mul_f32 v[28:29], v[38:39], v[8:9] op_sel:[0,1]
	ds_write_b64 v44, v[32:33] offset:64
	v_pk_fma_f32 v[32:33], v[38:39], v[8:9], v[28:29] op_sel:[0,0,1] op_sel_hi:[1,1,0] neg_lo:[0,0,1] neg_hi:[0,0,1]
	v_pk_fma_f32 v[28:29], v[38:39], v[8:9], v[28:29] op_sel:[0,0,1] op_sel_hi:[1,0,0]
	v_lshlrev_b32_e32 v1, 3, v1
	v_mov_b32_e32 v28, v11
	v_mov_b32_e32 v33, v29
	v_pk_mul_f32 v[28:29], v[30:31], v[28:29] op_sel_hi:[1,0]
	v_accvgpr_write_b32 a44, v1
	v_pk_fma_f32 v[36:37], v[30:31], v[10:11], v[28:29] op_sel:[0,0,1] op_sel_hi:[1,1,0] neg_lo:[0,0,1] neg_hi:[0,0,1]
	v_pk_fma_f32 v[28:29], v[30:31], v[10:11], v[28:29] op_sel:[0,0,1] op_sel_hi:[1,0,0]
	s_nop 0
	v_mov_b32_e32 v37, v29
	v_pk_add_f32 v[28:29], v[34:35], v[32:33]
	v_pk_add_f32 v[30:31], v[32:33], v[36:37]
	v_pk_add_f32 v[32:33], v[32:33], v[36:37] neg_lo:[0,1] neg_hi:[0,1]
	v_pk_fma_f32 v[30:31], v[30:31], 0.5, v[34:35] op_sel_hi:[1,0,1] neg_lo:[1,0,0] neg_hi:[1,0,0]
	v_pk_mul_f32 v[32:33], v[32:33], s[2:3] op_sel_hi:[1,0]
	v_pk_add_f32 v[28:29], v[28:29], v[36:37]
	v_pk_add_f32 v[34:35], v[30:31], v[32:33] op_sel:[0,1] op_sel_hi:[1,0]
	v_pk_add_f32 v[30:31], v[30:31], v[32:33] op_sel:[0,1] op_sel_hi:[1,0] neg_lo:[0,1] neg_hi:[0,1]
	v_mov_b32_e32 v32, v34
	v_mov_b32_e32 v33, v31
	ds_write2_b64 v1, v[28:29], v[32:33] offset1:4
	v_mov_b32_e32 v31, v35
	v_pk_mul_f32 v[28:29], v[24:25], v[4:5] op_sel:[0,1]
	ds_write_b64 v1, v[30:31] offset:64
	v_pk_fma_f32 v[30:31], v[24:25], v[4:5], v[28:29] op_sel:[0,0,1] op_sel_hi:[1,1,0] neg_lo:[0,0,1] neg_hi:[0,0,1]
	v_pk_fma_f32 v[24:25], v[24:25], v[4:5], v[28:29] op_sel:[0,0,1] op_sel_hi:[1,0,0]
	v_lshrrev_b32_e32 v1, 2, v90
	v_mov_b32_e32 v31, v25
	v_pk_mul_f32 v[24:25], v[20:21], v[48:49] op_sel_hi:[1,0]
	v_mul_u32_u24_e32 v1, 12, v1
	v_pk_fma_f32 v[28:29], v[20:21], v[6:7], v[24:25] op_sel:[0,0,1] op_sel_hi:[1,1,0] neg_lo:[0,0,1] neg_hi:[0,0,1]
	v_pk_fma_f32 v[20:21], v[20:21], v[6:7], v[24:25] op_sel:[0,0,1] op_sel_hi:[1,0,0]
	v_or_b32_e32 v1, v1, v64
	v_mov_b32_e32 v29, v21
	v_pk_add_f32 v[24:25], v[30:31], v[28:29]
	v_pk_add_f32 v[20:21], v[16:17], v[30:31]
	v_pk_fma_f32 v[16:17], v[24:25], 0.5, v[16:17] op_sel_hi:[1,0,1] neg_lo:[1,0,0] neg_hi:[1,0,0]
	v_pk_add_f32 v[24:25], v[30:31], v[28:29] neg_lo:[0,1] neg_hi:[0,1]
	v_pk_add_f32 v[20:21], v[20:21], v[28:29]
	v_pk_mul_f32 v[24:25], v[24:25], s[2:3] op_sel_hi:[1,0]
	v_lshlrev_b32_e32 v1, 3, v1
	v_pk_add_f32 v[28:29], v[16:17], v[24:25] op_sel:[0,1] op_sel_hi:[1,0]
	v_pk_add_f32 v[16:17], v[16:17], v[24:25] op_sel:[0,1] op_sel_hi:[1,0] neg_lo:[0,1] neg_hi:[0,1]
	v_mov_b32_e32 v24, v28
	v_mov_b32_e32 v25, v17
	;; [unrolled: 1-line block ×3, first 2 shown]
	ds_write_b64 v1, v[16:17] offset:64
	v_pk_mul_f32 v[16:17], v[26:27], v[224:225] op_sel_hi:[1,0]
	ds_write2_b64 v1, v[20:21], v[24:25] offset1:4
	v_pk_fma_f32 v[20:21], v[26:27], v[212:213], v[16:17] op_sel:[0,0,1] op_sel_hi:[1,1,0] neg_lo:[0,0,1] neg_hi:[0,0,1]
	v_pk_fma_f32 v[16:17], v[26:27], v[212:213], v[16:17] op_sel:[0,0,1] op_sel_hi:[1,0,0]
	v_accvgpr_write_b32 a45, v1
	v_mov_b32_e32 v21, v17
	v_pk_mul_f32 v[16:17], v[22:23], v[226:227] op_sel_hi:[1,0]
	v_lshrrev_b32_e32 v1, 2, v88
	v_pk_fma_f32 v[24:25], v[22:23], v[208:209], v[16:17] op_sel:[0,0,1] op_sel_hi:[1,1,0] neg_lo:[0,0,1] neg_hi:[0,0,1]
	v_pk_fma_f32 v[16:17], v[22:23], v[208:209], v[16:17] op_sel:[0,0,1] op_sel_hi:[1,0,0]
	v_mul_u32_u24_e32 v1, 12, v1
	v_mov_b32_e32 v25, v17
	v_pk_add_f32 v[16:17], v[18:19], v[20:21]
	v_pk_add_f32 v[22:23], v[20:21], v[24:25]
	v_pk_add_f32 v[20:21], v[20:21], v[24:25] neg_lo:[0,1] neg_hi:[0,1]
	v_pk_fma_f32 v[18:19], v[22:23], 0.5, v[18:19] op_sel_hi:[1,0,1] neg_lo:[1,0,0] neg_hi:[1,0,0]
	v_pk_mul_f32 v[20:21], v[20:21], s[2:3] op_sel_hi:[1,0]
	v_or_b32_e32 v1, v1, v66
	v_pk_add_f32 v[22:23], v[18:19], v[20:21] op_sel:[0,1] op_sel_hi:[1,0]
	v_pk_add_f32 v[18:19], v[18:19], v[20:21] op_sel:[0,1] op_sel_hi:[1,0] neg_lo:[0,1] neg_hi:[0,1]
	v_lshlrev_b32_e32 v1, 3, v1
	v_pk_add_f32 v[16:17], v[16:17], v[24:25]
	v_mov_b32_e32 v20, v22
	v_mov_b32_e32 v21, v19
	v_mov_b32_e32 v19, v23
	ds_write2_b64 v1, v[16:17], v[20:21] offset1:4
	v_accvgpr_write_b32 a47, v1
	ds_write_b64 v1, v[18:19] offset:64
	v_lshrrev_b32_e32 v1, 2, v86
	v_accvgpr_write_b32 a51, v1
	s_and_saveexec_b64 s[2:3], vcc
	s_cbranch_execz .LBB0_5
; %bb.4:
	v_accvgpr_read_b32 v1, a51
	v_mul_u32_u24_e32 v1, 12, v1
	v_accvgpr_read_b32 v16, a23
	v_or_b32_e32 v1, v1, v16
	v_lshlrev_b32_e32 v1, 3, v1
	v_mov_b32_e32 v16, v96
	v_mov_b32_e32 v17, v95
	ds_write2_b64 v1, v[92:93], v[16:17] offset1:4
	v_mov_b32_e32 v16, v94
	v_mov_b32_e32 v17, v97
	ds_write_b64 v1, v[16:17] offset:64
.LBB0_5:
	s_or_b64 exec, exec, s[2:3]
	v_add_u32_e32 v1, 0x800, v152
	s_waitcnt lgkmcnt(0)
	; wave barrier
	s_waitcnt lgkmcnt(0)
	ds_read2_b64 v[76:79], v1 offset0:164 offset1:227
	v_add_u32_e32 v1, 0x1800, v152
	v_add_u32_e32 v16, 0x1c00, v152
	ds_read2_b64 v[68:71], v152 offset1:63
	ds_read2_b64 v[72:75], v1 offset0:72 offset1:135
	ds_read2_b64 v[56:59], v152 offset0:126 offset1:189
	v_add_u32_e32 v1, 0x1000, v152
	ds_read2_b64 v[60:63], v16 offset0:70 offset1:133
	v_add_u32_e32 v16, 0x400, v152
	ds_read2_b64 v[64:67], v1 offset0:34 offset1:97
	ds_read2_b64 v[44:47], v16 offset0:124 offset1:187
	;; [unrolled: 1-line block ×3, first 2 shown]
	v_add_u32_e32 v1, 0x2000, v152
	ds_read2_b64 v[48:51], v1 offset0:68 offset1:131
	s_and_saveexec_b64 s[2:3], s[0:1]
	s_xor_b64 s[2:3], exec, s[2:3]
	s_andn2_saveexec_b64 s[2:3], s[2:3]
	s_cbranch_execz .LBB0_7
; %bb.6:
	ds_read_b64 v[16:17], v152 offset:6384
	ds_read_b64 v[94:95], v152 offset:9744
	ds_read_b64 v[92:93], v152 offset:3024
	s_waitcnt lgkmcnt(2)
	v_mov_b32_e32 v96, v16
	s_waitcnt lgkmcnt(1)
	v_mov_b32_e32 v97, v95
	v_mov_b32_e32 v95, v17
.LBB0_7:
	s_or_b64 exec, exec, s[2:3]
	s_movk_i32 s3, 0xab
	v_mul_lo_u16_sdwa v1, v156, s3 dst_sel:DWORD dst_unused:UNUSED_PAD src0_sel:BYTE_0 src1_sel:DWORD
	v_lshrrev_b16_e32 v1, 11, v1
	v_mul_lo_u16_e32 v16, 12, v1
	v_sub_u16_e32 v16, v156, v16
	s_mov_b32 s2, 0xaaab
	v_and_b32_e32 v36, 0xff, v16
	v_mul_u32_u24_sdwa v16, v90, s2 dst_sel:DWORD dst_unused:UNUSED_PAD src0_sel:WORD_0 src1_sel:DWORD
	v_lshrrev_b32_e32 v81, 19, v16
	v_mul_lo_u16_e32 v16, 12, v81
	v_sub_u16_e32 v83, v90, v16
	v_lshlrev_b16_e32 v16, 4, v83
	v_mov_b32_e32 v17, 0
	v_lshl_add_u64 v[32:33], s[14:15], 0, v[16:17]
	v_mul_u32_u24_sdwa v16, v88, s2 dst_sel:DWORD dst_unused:UNUSED_PAD src0_sel:WORD_0 src1_sel:DWORD
	v_lshrrev_b32_e32 v85, 19, v16
	v_mul_lo_u16_e32 v16, 12, v85
	v_sub_u16_e32 v102, v88, v16
	v_lshlrev_b16_e32 v16, 4, v102
	v_lshl_add_u64 v[34:35], s[14:15], 0, v[16:17]
	v_mul_u32_u24_sdwa v16, v86, s2 dst_sel:DWORD dst_unused:UNUSED_PAD src0_sel:WORD_0 src1_sel:DWORD
	v_mul_lo_u16_sdwa v24, v80, s3 dst_sel:DWORD dst_unused:UNUSED_PAD src0_sel:BYTE_0 src1_sel:DWORD
	v_lshrrev_b32_e32 v103, 19, v16
	v_lshrrev_b16_e32 v105, 11, v24
	v_mul_lo_u16_e32 v16, 12, v103
	v_mul_lo_u16_e32 v24, 12, v105
	v_lshlrev_b32_e32 v18, 4, v36
	v_sub_u16_e32 v104, v86, v16
	v_sub_u16_e32 v24, v80, v24
	global_load_dwordx4 v[20:23], v18, s[14:15] offset:80
	v_lshlrev_b16_e32 v16, 4, v104
	v_and_b32_e32 v106, 0xff, v24
	v_lshl_add_u64 v[16:17], s[14:15], 0, v[16:17]
	v_lshlrev_b32_e32 v24, 4, v106
	global_load_dwordx4 v[24:27], v24, s[14:15] offset:80
	v_mul_lo_u16_sdwa v28, v84, s3 dst_sel:DWORD dst_unused:UNUSED_PAD src0_sel:BYTE_0 src1_sel:DWORD
	global_load_dwordx4 v[16:19], v[16:17], off offset:80
	v_lshrrev_b16_e32 v107, 11, v28
	v_mul_lo_u16_e32 v28, 12, v107
	v_sub_u16_e32 v28, v84, v28
	v_and_b32_e32 v108, 0xff, v28
	v_lshlrev_b32_e32 v28, 4, v108
	global_load_dwordx4 v[28:31], v28, s[14:15] offset:80
	v_mul_lo_u16_sdwa v37, v82, s3 dst_sel:DWORD dst_unused:UNUSED_PAD src0_sel:BYTE_0 src1_sel:DWORD
	v_lshrrev_b16_e32 v109, 11, v37
	v_mul_lo_u16_e32 v37, 12, v109
	v_sub_u16_e32 v37, v82, v37
	v_mul_lo_u16_e32 v1, 36, v1
	v_and_b32_e32 v110, 0xff, v37
	v_and_b32_e32 v1, 0xfc, v1
	v_lshlrev_b32_e32 v37, 4, v110
	v_add_lshl_u32 v1, v1, v36, 3
	global_load_dwordx4 v[40:43], v37, s[14:15] offset:80
	s_nop 0
	global_load_dwordx4 v[36:39], v[32:33], off offset:80
	s_nop 0
	global_load_dwordx4 v[32:35], v[34:35], off offset:80
	s_mov_b32 s2, 0x3f5db3d7
	s_waitcnt lgkmcnt(0)
	; wave barrier
	s_waitcnt lgkmcnt(0)
	v_accvgpr_write_b32 a42, v1
	s_waitcnt vmcnt(6)
	v_pk_mul_f32 v[86:87], v[76:77], v[20:21] op_sel:[0,1]
	v_mov_b32_e32 v88, v23
	v_pk_fma_f32 v[90:91], v[76:77], v[20:21], v[86:87] op_sel:[0,0,1] op_sel_hi:[1,1,0] neg_lo:[0,0,1] neg_hi:[0,0,1]
	v_pk_fma_f32 v[76:77], v[76:77], v[20:21], v[86:87] op_sel:[0,0,1] op_sel_hi:[1,0,0]
	v_pk_mul_f32 v[86:87], v[72:73], v[88:89] op_sel_hi:[1,0]
	v_mov_b32_e32 v91, v77
	v_pk_fma_f32 v[100:101], v[72:73], v[22:23], v[86:87] op_sel:[0,0,1] op_sel_hi:[1,1,0] neg_lo:[0,0,1] neg_hi:[0,0,1]
	s_waitcnt vmcnt(4)
	v_pk_mul_f32 v[88:89], v[94:95], v[16:17] op_sel:[1,0]
	v_pk_mul_f32 v[98:99], v[96:97], v[18:19] op_sel:[1,0]
	v_pk_fma_f32 v[86:87], v[72:73], v[22:23], v[86:87] op_sel:[0,0,1] op_sel_hi:[1,0,0]
	v_pk_fma_f32 v[72:73], v[96:97], v[16:17], v[88:89] op_sel:[0,0,1] op_sel_hi:[1,1,0] neg_lo:[0,0,1] neg_hi:[0,0,1]
	v_pk_fma_f32 v[88:89], v[96:97], v[16:17], v[88:89] op_sel:[0,0,1] op_sel_hi:[0,1,0]
	v_pk_fma_f32 v[76:77], v[94:95], v[18:19], v[98:99] op_sel:[0,0,1] op_sel_hi:[1,1,0] neg_lo:[0,0,1] neg_hi:[0,0,1]
	v_pk_fma_f32 v[94:95], v[94:95], v[18:19], v[98:99] op_sel:[0,0,1] op_sel_hi:[0,1,0]
	v_mov_b32_e32 v101, v87
	v_pk_add_f32 v[86:87], v[68:69], v[90:91]
	v_mov_b32_e32 v73, v89
	v_mov_b32_e32 v77, v95
	v_pk_add_f32 v[88:89], v[86:87], v[100:101]
	v_pk_add_f32 v[86:87], v[90:91], v[100:101]
	v_pk_add_f32 v[90:91], v[90:91], v[100:101] neg_lo:[0,1] neg_hi:[0,1]
	v_pk_add_f32 v[94:95], v[72:73], v[76:77]
	v_pk_add_f32 v[96:97], v[72:73], v[76:77] neg_lo:[0,1] neg_hi:[0,1]
	v_pk_fma_f32 v[68:69], v[86:87], 0.5, v[68:69] op_sel_hi:[1,0,1] neg_lo:[1,0,0] neg_hi:[1,0,0]
	v_pk_mul_f32 v[86:87], v[90:91], s[2:3] op_sel_hi:[1,0]
	v_pk_fma_f32 v[90:91], v[94:95], 0.5, v[92:93] op_sel_hi:[1,0,1] neg_lo:[1,0,0] neg_hi:[1,0,0]
	v_pk_mul_f32 v[94:95], v[96:97], s[2:3] op_sel_hi:[1,0]
	v_pk_add_f32 v[96:97], v[68:69], v[86:87] op_sel:[0,1] op_sel_hi:[1,0]
	v_pk_add_f32 v[98:99], v[68:69], v[86:87] op_sel:[0,1] op_sel_hi:[1,0] neg_lo:[0,1] neg_hi:[0,1]
	v_pk_add_f32 v[68:69], v[90:91], v[94:95] op_sel:[0,1] op_sel_hi:[1,0] neg_lo:[0,1] neg_hi:[0,1]
	v_pk_add_f32 v[86:87], v[90:91], v[94:95] op_sel:[0,1] op_sel_hi:[1,0]
	v_mov_b32_e32 v90, v96
	v_mov_b32_e32 v91, v99
	ds_write2_b64 v1, v[88:89], v[90:91] offset1:12
	v_pk_mul_f32 v[88:89], v[78:79], v[24:25] op_sel:[0,1]
	v_mov_b32_e32 v99, v97
	v_pk_fma_f32 v[90:91], v[78:79], v[24:25], v[88:89] op_sel:[0,0,1] op_sel_hi:[1,1,0] neg_lo:[0,0,1] neg_hi:[0,0,1]
	v_pk_fma_f32 v[78:79], v[78:79], v[24:25], v[88:89] op_sel:[0,0,1] op_sel_hi:[1,0,0]
	ds_write_b64 v1, v[98:99] offset:192
	v_mov_b32_e32 v78, v27
	v_mov_b32_e32 v91, v79
	v_pk_mul_f32 v[78:79], v[74:75], v[78:79] op_sel_hi:[1,0]
	v_mul_u32_u24_e32 v1, 36, v105
	v_pk_fma_f32 v[88:89], v[74:75], v[26:27], v[78:79] op_sel:[0,0,1] op_sel_hi:[1,1,0] neg_lo:[0,0,1] neg_hi:[0,0,1]
	v_pk_fma_f32 v[74:75], v[74:75], v[26:27], v[78:79] op_sel:[0,0,1] op_sel_hi:[1,0,0]
	v_add_lshl_u32 v1, v1, v106, 3
	v_mov_b32_e32 v89, v75
	v_pk_add_f32 v[78:79], v[90:91], v[88:89]
	v_pk_add_f32 v[74:75], v[70:71], v[90:91]
	v_pk_fma_f32 v[70:71], v[78:79], 0.5, v[70:71] op_sel_hi:[1,0,1] neg_lo:[1,0,0] neg_hi:[1,0,0]
	v_pk_add_f32 v[78:79], v[90:91], v[88:89] neg_lo:[0,1] neg_hi:[0,1]
	v_pk_add_f32 v[74:75], v[74:75], v[88:89]
	v_pk_mul_f32 v[78:79], v[78:79], s[2:3] op_sel_hi:[1,0]
	v_accvgpr_write_b32 a46, v1
	v_pk_add_f32 v[88:89], v[70:71], v[78:79] op_sel:[0,1] op_sel_hi:[1,0]
	v_pk_add_f32 v[70:71], v[70:71], v[78:79] op_sel:[0,1] op_sel_hi:[1,0] neg_lo:[0,1] neg_hi:[0,1]
	v_mov_b32_e32 v78, v88
	v_mov_b32_e32 v79, v71
	;; [unrolled: 1-line block ×3, first 2 shown]
	ds_write_b64 v1, v[70:71] offset:192
	s_waitcnt vmcnt(3)
	v_pk_mul_f32 v[70:71], v[64:65], v[28:29] op_sel:[0,1]
	ds_write2_b64 v1, v[74:75], v[78:79] offset1:12
	v_pk_fma_f32 v[74:75], v[64:65], v[28:29], v[70:71] op_sel:[0,0,1] op_sel_hi:[1,1,0] neg_lo:[0,0,1] neg_hi:[0,0,1]
	v_pk_fma_f32 v[64:65], v[64:65], v[28:29], v[70:71] op_sel:[0,0,1] op_sel_hi:[1,0,0]
	v_mul_u32_u24_e32 v1, 36, v107
	v_mov_b32_e32 v64, v31
	v_mov_b32_e32 v75, v65
	v_pk_mul_f32 v[64:65], v[60:61], v[64:65] op_sel_hi:[1,0]
	v_add_lshl_u32 v1, v1, v108, 3
	v_pk_fma_f32 v[70:71], v[60:61], v[30:31], v[64:65] op_sel:[0,0,1] op_sel_hi:[1,1,0] neg_lo:[0,0,1] neg_hi:[0,0,1]
	v_pk_fma_f32 v[60:61], v[60:61], v[30:31], v[64:65] op_sel:[0,0,1] op_sel_hi:[1,0,0]
	v_accvgpr_write_b32 a48, v1
	v_mov_b32_e32 v71, v61
	v_pk_add_f32 v[64:65], v[74:75], v[70:71]
	v_pk_add_f32 v[60:61], v[56:57], v[74:75]
	v_pk_fma_f32 v[56:57], v[64:65], 0.5, v[56:57] op_sel_hi:[1,0,1] neg_lo:[1,0,0] neg_hi:[1,0,0]
	v_pk_add_f32 v[64:65], v[74:75], v[70:71] neg_lo:[0,1] neg_hi:[0,1]
	v_pk_add_f32 v[60:61], v[60:61], v[70:71]
	v_pk_mul_f32 v[64:65], v[64:65], s[2:3] op_sel_hi:[1,0]
	v_mov_b32_e32 v134, v68
	v_pk_add_f32 v[70:71], v[56:57], v[64:65] op_sel:[0,1] op_sel_hi:[1,0]
	v_pk_add_f32 v[56:57], v[56:57], v[64:65] op_sel:[0,1] op_sel_hi:[1,0] neg_lo:[0,1] neg_hi:[0,1]
	v_mov_b32_e32 v64, v70
	v_mov_b32_e32 v65, v57
	;; [unrolled: 1-line block ×3, first 2 shown]
	ds_write_b64 v1, v[56:57] offset:192
	s_waitcnt vmcnt(2)
	v_pk_mul_f32 v[56:57], v[66:67], v[40:41] op_sel:[0,1]
	ds_write2_b64 v1, v[60:61], v[64:65] offset1:12
	v_pk_fma_f32 v[60:61], v[66:67], v[40:41], v[56:57] op_sel:[0,0,1] op_sel_hi:[1,1,0] neg_lo:[0,0,1] neg_hi:[0,0,1]
	v_pk_fma_f32 v[56:57], v[66:67], v[40:41], v[56:57] op_sel:[0,0,1] op_sel_hi:[1,0,0]
	v_mul_u32_u24_e32 v1, 36, v109
	v_mov_b32_e32 v56, v43
	v_mov_b32_e32 v61, v57
	v_pk_mul_f32 v[56:57], v[62:63], v[56:57] op_sel_hi:[1,0]
	v_add_lshl_u32 v1, v1, v110, 3
	v_pk_fma_f32 v[64:65], v[62:63], v[42:43], v[56:57] op_sel:[0,0,1] op_sel_hi:[1,1,0] neg_lo:[0,0,1] neg_hi:[0,0,1]
	v_pk_fma_f32 v[56:57], v[62:63], v[42:43], v[56:57] op_sel:[0,0,1] op_sel_hi:[1,0,0]
	v_accvgpr_write_b32 a49, v1
	v_mov_b32_e32 v65, v57
	v_pk_add_f32 v[56:57], v[58:59], v[60:61]
	v_pk_add_f32 v[62:63], v[60:61], v[64:65]
	v_pk_add_f32 v[60:61], v[60:61], v[64:65] neg_lo:[0,1] neg_hi:[0,1]
	v_pk_fma_f32 v[58:59], v[62:63], 0.5, v[58:59] op_sel_hi:[1,0,1] neg_lo:[1,0,0] neg_hi:[1,0,0]
	v_pk_mul_f32 v[60:61], v[60:61], s[2:3] op_sel_hi:[1,0]
	v_pk_add_f32 v[56:57], v[56:57], v[64:65]
	v_pk_add_f32 v[62:63], v[58:59], v[60:61] op_sel:[0,1] op_sel_hi:[1,0]
	v_pk_add_f32 v[58:59], v[58:59], v[60:61] op_sel:[0,1] op_sel_hi:[1,0] neg_lo:[0,1] neg_hi:[0,1]
	v_mov_b32_e32 v60, v62
	v_mov_b32_e32 v61, v59
	ds_write2_b64 v1, v[56:57], v[60:61] offset1:12
	v_mov_b32_e32 v59, v63
	s_waitcnt vmcnt(1)
	v_pk_mul_f32 v[56:57], v[52:53], v[36:37] op_sel:[0,1]
	ds_write_b64 v1, v[58:59] offset:192
	v_pk_fma_f32 v[58:59], v[52:53], v[36:37], v[56:57] op_sel:[0,0,1] op_sel_hi:[1,1,0] neg_lo:[0,0,1] neg_hi:[0,0,1]
	v_pk_fma_f32 v[52:53], v[52:53], v[36:37], v[56:57] op_sel:[0,0,1] op_sel_hi:[1,0,0]
	v_mad_legacy_u16 v1, v81, 36, v83
	v_mov_b32_e32 v52, v39
	v_mov_b32_e32 v59, v53
	v_pk_mul_f32 v[52:53], v[48:49], v[52:53] op_sel_hi:[1,0]
	v_lshlrev_b32_e32 v1, 3, v1
	v_pk_fma_f32 v[56:57], v[48:49], v[38:39], v[52:53] op_sel:[0,0,1] op_sel_hi:[1,1,0] neg_lo:[0,0,1] neg_hi:[0,0,1]
	v_pk_fma_f32 v[48:49], v[48:49], v[38:39], v[52:53] op_sel:[0,0,1] op_sel_hi:[1,0,0]
	v_accvgpr_write_b32 a50, v1
	v_mov_b32_e32 v57, v49
	v_pk_add_f32 v[48:49], v[58:59], v[56:57]
	v_pk_add_f32 v[52:53], v[58:59], v[56:57] neg_lo:[0,1] neg_hi:[0,1]
	v_pk_fma_f32 v[48:49], v[48:49], 0.5, v[44:45] op_sel_hi:[1,0,1] neg_lo:[1,0,0] neg_hi:[1,0,0]
	v_pk_mul_f32 v[52:53], v[52:53], s[2:3] op_sel_hi:[1,0]
	v_pk_add_f32 v[44:45], v[44:45], v[58:59]
	v_pk_add_f32 v[60:61], v[48:49], v[52:53] op_sel:[0,1] op_sel_hi:[1,0] neg_lo:[0,1] neg_hi:[0,1]
	v_pk_add_f32 v[48:49], v[48:49], v[52:53] op_sel:[0,1] op_sel_hi:[1,0]
	v_pk_add_f32 v[44:45], v[44:45], v[56:57]
	v_mov_b32_e32 v52, v48
	v_mov_b32_e32 v53, v61
	ds_write2_b64 v1, v[44:45], v[52:53] offset1:12
	s_waitcnt vmcnt(0)
	v_pk_mul_f32 v[44:45], v[54:55], v[32:33] op_sel:[0,1]
	v_mov_b32_e32 v61, v49
	v_pk_fma_f32 v[48:49], v[54:55], v[32:33], v[44:45] op_sel:[0,0,1] op_sel_hi:[1,1,0] neg_lo:[0,0,1] neg_hi:[0,0,1]
	v_pk_fma_f32 v[44:45], v[54:55], v[32:33], v[44:45] op_sel:[0,0,1] op_sel_hi:[1,0,0]
	ds_write_b64 v1, v[60:61] offset:192
	v_mov_b32_e32 v44, v35
	v_mov_b32_e32 v49, v45
	v_pk_mul_f32 v[44:45], v[50:51], v[44:45] op_sel_hi:[1,0]
	v_mad_legacy_u16 v1, v85, 36, v102
	v_pk_fma_f32 v[52:53], v[50:51], v[34:35], v[44:45] op_sel:[0,0,1] op_sel_hi:[1,1,0] neg_lo:[0,0,1] neg_hi:[0,0,1]
	v_pk_fma_f32 v[44:45], v[50:51], v[34:35], v[44:45] op_sel:[0,0,1] op_sel_hi:[1,0,0]
	v_lshlrev_b32_e32 v1, 3, v1
	v_mov_b32_e32 v53, v45
	v_pk_add_f32 v[44:45], v[48:49], v[52:53]
	v_pk_add_f32 v[50:51], v[48:49], v[52:53] neg_lo:[0,1] neg_hi:[0,1]
	v_pk_fma_f32 v[44:45], v[44:45], 0.5, v[46:47] op_sel_hi:[1,0,1] neg_lo:[1,0,0] neg_hi:[1,0,0]
	v_pk_mul_f32 v[50:51], v[50:51], s[2:3] op_sel_hi:[1,0]
	v_pk_add_f32 v[46:47], v[46:47], v[48:49]
	v_pk_add_f32 v[54:55], v[44:45], v[50:51] op_sel:[0,1] op_sel_hi:[1,0] neg_lo:[0,1] neg_hi:[0,1]
	v_pk_add_f32 v[44:45], v[44:45], v[50:51] op_sel:[0,1] op_sel_hi:[1,0]
	v_pk_add_f32 v[46:47], v[46:47], v[52:53]
	v_mov_b32_e32 v48, v44
	v_mov_b32_e32 v49, v55
	;; [unrolled: 1-line block ×3, first 2 shown]
	ds_write2_b64 v1, v[46:47], v[48:49] offset1:12
	v_accvgpr_write_b32 a52, v1
	ds_write_b64 v1, v[54:55] offset:192
	v_mad_legacy_u16 v1, v103, 36, v104
	v_mov_b32_e32 v135, v87
	v_accvgpr_write_b32 a53, v1
	s_and_saveexec_b64 s[2:3], vcc
	s_cbranch_execz .LBB0_9
; %bb.8:
	v_accvgpr_read_b32 v1, a53
	v_pk_add_f32 v[44:45], v[92:93], v[72:73]
	v_lshlrev_b32_e32 v1, 3, v1
	v_pk_add_f32 v[44:45], v[44:45], v[76:77]
	v_mov_b32_e32 v87, v69
	ds_write2_b64 v1, v[44:45], v[86:87] offset1:12
	ds_write_b64 v1, v[134:135] offset:192
.LBB0_9:
	s_or_b64 exec, exec, s[2:3]
	v_mov_b32_e32 v1, 57
	v_mul_lo_u16_sdwa v44, v82, v1 dst_sel:DWORD dst_unused:UNUSED_PAD src0_sel:BYTE_0 src1_sel:DWORD
	v_lshrrev_b16_e32 v69, 11, v44
	v_mul_lo_u16_e32 v44, 36, v69
	v_sub_u16_e32 v44, v82, v44
	v_and_b32_e32 v85, 0xff, v44
	v_lshlrev_b32_e32 v44, 5, v85
	s_waitcnt lgkmcnt(0)
	; wave barrier
	s_waitcnt lgkmcnt(0)
	global_load_dwordx4 v[48:51], v44, s[14:15] offset:272
	s_nop 0
	global_load_dwordx4 v[44:47], v44, s[14:15] offset:288
	v_mul_lo_u16_sdwa v52, v84, v1 dst_sel:DWORD dst_unused:UNUSED_PAD src0_sel:BYTE_0 src1_sel:DWORD
	v_lshrrev_b16_e32 v153, 11, v52
	v_mul_lo_u16_e32 v52, 36, v153
	v_sub_u16_e32 v52, v84, v52
	v_and_b32_e32 v162, 0xff, v52
	v_lshlrev_b32_e32 v52, 5, v162
	global_load_dwordx4 v[64:67], v52, s[14:15] offset:288
	global_load_dwordx4 v[76:79], v52, s[14:15] offset:272
	s_movk_i32 s2, 0xffdc
	v_mul_lo_u16_sdwa v1, v80, v1 dst_sel:DWORD dst_unused:UNUSED_PAD src0_sel:BYTE_0 src1_sel:DWORD
	s_mov_b32 s3, -1
	v_lshrrev_b16_e32 v1, 11, v1
	v_lshl_add_u64 v[52:53], v[156:157], 0, s[2:3]
	v_cmp_gt_u16_e64 s[2:3], 36, v156
	v_mul_lo_u16_e32 v54, 36, v1
	v_sub_u16_e32 v70, v80, v54
	v_cndmask_b32_e64 v125, v53, 0, s[2:3]
	v_cndmask_b32_e64 v124, v52, v156, s[2:3]
	v_lshlrev_b64 v[52:53], 5, v[124:125]
	v_and_b32_e32 v125, 0xff, v70
	v_add_u32_e32 v134, 0x800, v152
	v_lshl_add_u64 v[56:57], s[14:15], 0, v[52:53]
	v_lshlrev_b32_e32 v70, 5, v125
	v_add_u32_e32 v154, 0x1000, v152
	v_add_u32_e32 v155, 0x1800, v152
	;; [unrolled: 1-line block ×3, first 2 shown]
	ds_read2_b64 v[60:63], v152 offset0:126 offset1:189
	ds_read2_b64 v[108:111], v134 offset0:122 offset1:185
	;; [unrolled: 1-line block ×5, first 2 shown]
	global_load_dwordx4 v[52:55], v[56:57], off offset:288
	s_nop 0
	global_load_dwordx4 v[56:59], v[56:57], off offset:272
	s_nop 0
	global_load_dwordx4 v[72:75], v70, s[14:15] offset:288
	global_load_dwordx4 v[80:83], v70, s[14:15] offset:272
	s_mov_b32 s4, 0x3f737871
	s_mov_b32 s18, 0x3f167918
	;; [unrolled: 1-line block ×4, first 2 shown]
	v_mul_u32_u24_e32 v1, 0xb4, v1
	v_cmp_lt_u16_e64 s[2:3], 35, v156
	s_waitcnt vmcnt(7)
	v_mov_b32_e32 v86, v51
	s_waitcnt lgkmcnt(3)
	v_pk_mul_f32 v[70:71], v[110:111], v[48:49] op_sel:[0,1]
	s_waitcnt vmcnt(6) lgkmcnt(1)
	v_pk_mul_f32 v[90:91], v[118:119], v[44:45] op_sel:[0,1]
	v_mov_b32_e32 v94, v47
	v_pk_mul_f32 v[86:87], v[114:115], v[86:87] op_sel_hi:[1,0]
	v_pk_fma_f32 v[92:93], v[110:111], v[48:49], v[70:71] op_sel:[0,0,1] op_sel_hi:[1,1,0] neg_lo:[0,0,1] neg_hi:[0,0,1]
	v_pk_fma_f32 v[98:99], v[110:111], v[48:49], v[70:71] op_sel:[0,0,1] op_sel_hi:[1,0,0]
	v_pk_fma_f32 v[88:89], v[118:119], v[44:45], v[90:91] op_sel:[0,0,1] op_sel_hi:[1,1,0] neg_lo:[0,0,1] neg_hi:[0,0,1]
	v_pk_fma_f32 v[70:71], v[118:119], v[44:45], v[90:91] op_sel:[0,0,1] op_sel_hi:[1,0,0]
	s_waitcnt lgkmcnt(0)
	v_pk_mul_f32 v[94:95], v[122:123], v[94:95] op_sel_hi:[1,0]
	v_pk_fma_f32 v[90:91], v[114:115], v[50:51], v[86:87] op_sel:[0,0,1] op_sel_hi:[1,1,0] neg_lo:[0,0,1] neg_hi:[0,0,1]
	v_pk_fma_f32 v[100:101], v[114:115], v[50:51], v[86:87] op_sel:[0,0,1] op_sel_hi:[1,0,0]
	v_mov_b32_e32 v89, v71
	v_pk_fma_f32 v[96:97], v[122:123], v[46:47], v[94:95] op_sel:[0,0,1] op_sel_hi:[1,1,0] neg_lo:[0,0,1] neg_hi:[0,0,1]
	v_pk_fma_f32 v[86:87], v[122:123], v[46:47], v[94:95] op_sel:[0,0,1] op_sel_hi:[1,0,0]
	v_mov_b32_e32 v91, v101
	v_mov_b32_e32 v93, v99
	;; [unrolled: 1-line block ×3, first 2 shown]
	v_pk_add_f32 v[104:105], v[90:91], v[88:89]
	v_mov_b32_e32 v102, v92
	v_mov_b32_e32 v103, v96
	;; [unrolled: 1-line block ×3, first 2 shown]
	v_pk_add_f32 v[110:111], v[92:93], v[96:97] neg_lo:[0,1] neg_hi:[0,1]
	v_pk_add_f32 v[98:99], v[90:91], v[88:89] neg_lo:[0,1] neg_hi:[0,1]
	v_pk_add_f32 v[106:107], v[92:93], v[90:91] neg_lo:[0,1] neg_hi:[0,1]
	v_pk_add_f32 v[114:115], v[96:97], v[88:89] neg_lo:[0,1] neg_hi:[0,1]
	v_mov_b32_e32 v91, v88
	v_pk_fma_f32 v[104:105], v[104:105], 0.5, v[62:63] op_sel_hi:[1,0,1] neg_lo:[1,0,0] neg_hi:[1,0,0]
	v_mov_b32_e32 v70, v101
	v_pk_add_f32 v[106:107], v[106:107], v[114:115]
	v_pk_add_f32 v[102:103], v[90:91], v[102:103] neg_lo:[0,1] neg_hi:[0,1]
	v_pk_fma_f32 v[114:115], v[110:111], s[4:5], v[104:105] op_sel:[1,0,0] op_sel_hi:[0,0,1]
	v_pk_fma_f32 v[104:105], v[110:111], s[4:5], v[104:105] op_sel:[1,0,0] op_sel_hi:[0,0,1] neg_lo:[1,0,0] neg_hi:[1,0,0]
	v_pk_add_f32 v[118:119], v[70:71], v[86:87] neg_lo:[0,1] neg_hi:[0,1]
	v_mov_b32_e32 v70, v103
	v_pk_fma_f32 v[104:105], v[98:99], s[18:19], v[104:105] op_sel:[1,0,0] op_sel_hi:[0,0,1] neg_lo:[1,0,0] neg_hi:[1,0,0]
	v_pk_fma_f32 v[114:115], v[98:99], s[18:19], v[114:115] op_sel:[1,0,0] op_sel_hi:[0,0,1]
	v_pk_add_f32 v[102:103], v[102:103], v[70:71]
	v_mov_b32_e32 v122, v114
	v_mov_b32_e32 v123, v105
	;; [unrolled: 1-line block ×4, first 2 shown]
	v_pk_fma_f32 v[132:133], v[106:107], s[16:17], v[122:123] op_sel_hi:[1,0,1]
	v_pk_fma_f32 v[122:123], v[106:107], s[16:17], v[104:105] op_sel_hi:[1,0,1]
	v_pk_add_f32 v[106:107], v[118:119], v[70:71]
	v_mov_b32_e32 v103, v111
	v_mov_b32_e32 v107, v110
	s_waitcnt vmcnt(4)
	v_pk_mul_f32 v[110:111], v[108:109], v[76:77] op_sel:[0,1]
	v_mov_b32_e32 v70, v79
	v_pk_fma_f32 v[114:115], v[108:109], v[76:77], v[110:111] op_sel:[0,0,1] op_sel_hi:[1,0,0]
	v_pk_fma_f32 v[136:137], v[108:109], v[76:77], v[110:111] op_sel:[0,0,1] op_sel_hi:[1,0,0] neg_lo:[0,0,1] neg_hi:[0,0,1]
	v_pk_mul_f32 v[108:109], v[112:113], v[70:71] op_sel_hi:[1,0]
	v_mov_b32_e32 v70, v67
	v_pk_fma_f32 v[110:111], v[112:113], v[78:79], v[108:109] op_sel:[0,0,1] op_sel_hi:[1,0,0]
	v_pk_fma_f32 v[138:139], v[112:113], v[78:79], v[108:109] op_sel:[0,0,1] op_sel_hi:[1,0,0] neg_lo:[0,0,1] neg_hi:[0,0,1]
	v_pk_mul_f32 v[108:109], v[116:117], v[64:65] op_sel:[0,1]
	v_mov_b32_e32 v139, v111
	v_pk_fma_f32 v[110:111], v[116:117], v[64:65], v[108:109] op_sel:[0,0,1] op_sel_hi:[1,0,0]
	v_pk_fma_f32 v[140:141], v[116:117], v[64:65], v[108:109] op_sel:[0,0,1] op_sel_hi:[1,0,0] neg_lo:[0,0,1] neg_hi:[0,0,1]
	v_pk_mul_f32 v[108:109], v[120:121], v[70:71] op_sel_hi:[1,0]
	v_mov_b32_e32 v141, v111
	v_pk_fma_f32 v[110:111], v[120:121], v[66:67], v[108:109] op_sel:[0,0,1] op_sel_hi:[1,0,0]
	v_pk_fma_f32 v[142:143], v[120:121], v[66:67], v[108:109] op_sel:[0,0,1] op_sel_hi:[1,0,0] neg_lo:[0,0,1] neg_hi:[0,0,1]
	v_mov_b32_e32 v137, v115
	v_mov_b32_e32 v143, v111
	v_pk_add_f32 v[110:111], v[136:137], v[138:139] neg_lo:[0,1] neg_hi:[0,1]
	v_pk_add_f32 v[112:113], v[142:143], v[140:141] neg_lo:[0,1] neg_hi:[0,1]
	v_add_lshl_u32 v91, v1, v125, 3
	v_add_u32_e32 v1, 0x400, v152
	v_pk_add_f32 v[148:149], v[110:111], v[112:113]
	ds_read2_b64 v[112:115], v1 offset0:124 offset1:187
	v_add_u32_e32 v1, 0xc00, v152
	v_mov_b32_e32 v89, 0xb4
	ds_read2_b64 v[118:121], v1 offset0:120 offset1:183
	v_cndmask_b32_e64 v89, 0, v89, s[2:3]
	v_add_u32_e32 v1, 0x1400, v152
	v_pk_add_f32 v[94:95], v[62:63], v[92:93]
	v_add_lshl_u32 v165, v124, v89, 3
	ds_read2_b64 v[124:127], v1 offset0:116 offset1:179
	v_pk_add_f32 v[100:101], v[94:95], v[100:101]
	v_add_u32_e32 v89, 0x1c00, v152
	s_waitcnt vmcnt(0) lgkmcnt(2)
	v_pk_mul_f32 v[166:167], v[114:115], v[80:81] op_sel:[0,1]
	ds_read2_b64 v[128:131], v89 offset0:112 offset1:175
	v_pk_fma_f32 v[168:169], v[114:115], v[80:81], v[166:167] op_sel:[0,0,1] op_sel_hi:[1,1,0] neg_lo:[0,0,1] neg_hi:[0,0,1]
	v_pk_fma_f32 v[114:115], v[114:115], v[80:81], v[166:167] op_sel:[0,0,1] op_sel_hi:[1,0,0]
	v_mov_b32_e32 v100, v83
	v_mov_b32_e32 v169, v115
	s_waitcnt lgkmcnt(2)
	v_pk_mul_f32 v[114:115], v[120:121], v[100:101] op_sel_hi:[1,0]
	v_mov_b32_e32 v100, v75
	v_pk_fma_f32 v[166:167], v[120:121], v[82:83], v[114:115] op_sel:[0,0,1] op_sel_hi:[1,1,0] neg_lo:[0,0,1] neg_hi:[0,0,1]
	v_pk_fma_f32 v[114:115], v[120:121], v[82:83], v[114:115] op_sel:[0,0,1] op_sel_hi:[1,0,0]
	v_pk_add_f32 v[108:109], v[138:139], v[140:141]
	v_mov_b32_e32 v167, v115
	s_waitcnt lgkmcnt(1)
	v_pk_mul_f32 v[114:115], v[126:127], v[72:73] op_sel:[0,1]
	v_pk_fma_f32 v[108:109], v[108:109], 0.5, v[60:61] op_sel_hi:[1,0,1] neg_lo:[1,0,0] neg_hi:[1,0,0]
	v_pk_fma_f32 v[120:121], v[126:127], v[72:73], v[114:115] op_sel:[0,0,1] op_sel_hi:[1,1,0] neg_lo:[0,0,1] neg_hi:[0,0,1]
	v_pk_fma_f32 v[114:115], v[126:127], v[72:73], v[114:115] op_sel:[0,0,1] op_sel_hi:[1,0,0]
	v_pk_add_f32 v[144:145], v[136:137], v[142:143] neg_lo:[0,1] neg_hi:[0,1]
	v_mov_b32_e32 v121, v115
	s_waitcnt lgkmcnt(0)
	v_pk_mul_f32 v[114:115], v[130:131], v[100:101] op_sel_hi:[1,0]
	v_mov_b32_e32 v100, v59
	v_pk_fma_f32 v[126:127], v[130:131], v[74:75], v[114:115] op_sel:[0,0,1] op_sel_hi:[1,1,0] neg_lo:[0,0,1] neg_hi:[0,0,1]
	v_pk_fma_f32 v[114:115], v[130:131], v[74:75], v[114:115] op_sel:[0,0,1] op_sel_hi:[1,0,0]
	v_pk_mul_f32 v[130:131], v[112:113], v[56:57] op_sel:[0,1]
	v_pk_add_f32 v[146:147], v[138:139], v[140:141] neg_lo:[0,1] neg_hi:[0,1]
	v_pk_fma_f32 v[206:207], v[112:113], v[56:57], v[130:131] op_sel:[0,0,1] op_sel_hi:[1,1,0] neg_lo:[0,0,1] neg_hi:[0,0,1]
	v_pk_fma_f32 v[112:113], v[112:113], v[56:57], v[130:131] op_sel:[0,0,1] op_sel_hi:[1,0,0]
	v_pk_fma_f32 v[110:111], v[144:145], s[4:5], v[108:109] op_sel:[1,0,0] op_sel_hi:[0,0,1]
	v_pk_fma_f32 v[108:109], v[144:145], s[4:5], v[108:109] op_sel:[1,0,0] op_sel_hi:[0,0,1] neg_lo:[1,0,0] neg_hi:[1,0,0]
	v_mov_b32_e32 v207, v113
	v_pk_mul_f32 v[112:113], v[118:119], v[100:101] op_sel_hi:[1,0]
	v_pk_fma_f32 v[150:151], v[146:147], s[18:19], v[110:111] op_sel:[1,0,0] op_sel_hi:[0,0,1]
	v_pk_fma_f32 v[158:159], v[146:147], s[18:19], v[108:109] op_sel:[1,0,0] op_sel_hi:[0,0,1] neg_lo:[1,0,0] neg_hi:[1,0,0]
	v_pk_fma_f32 v[130:131], v[118:119], v[58:59], v[112:113] op_sel:[0,0,1] op_sel_hi:[1,1,0] neg_lo:[0,0,1] neg_hi:[0,0,1]
	v_pk_fma_f32 v[112:113], v[118:119], v[58:59], v[112:113] op_sel:[0,0,1] op_sel_hi:[1,0,0]
	v_mov_b32_e32 v108, v158
	v_mov_b32_e32 v109, v151
	;; [unrolled: 1-line block ×3, first 2 shown]
	v_pk_mul_f32 v[112:113], v[124:125], v[52:53] op_sel:[0,1]
	v_pk_fma_f32 v[116:117], v[148:149], s[16:17], v[108:109] op_sel_hi:[1,0,1]
	ds_read2_b64 v[108:111], v152 offset1:63
	v_pk_fma_f32 v[118:119], v[124:125], v[52:53], v[112:113] op_sel:[0,0,1] op_sel_hi:[1,1,0] neg_lo:[0,0,1] neg_hi:[0,0,1]
	v_pk_fma_f32 v[112:113], v[124:125], v[52:53], v[112:113] op_sel:[0,0,1] op_sel_hi:[1,0,0]
	v_mov_b32_e32 v100, v55
	v_mov_b32_e32 v119, v113
	v_pk_mul_f32 v[112:113], v[128:129], v[100:101] op_sel_hi:[1,0]
	v_pk_add_f32 v[232:233], v[130:131], v[118:119] neg_lo:[0,1] neg_hi:[0,1]
	v_pk_fma_f32 v[124:125], v[128:129], v[54:55], v[112:113] op_sel:[0,0,1] op_sel_hi:[1,1,0] neg_lo:[0,0,1] neg_hi:[0,0,1]
	v_pk_fma_f32 v[112:113], v[128:129], v[54:55], v[112:113] op_sel:[0,0,1] op_sel_hi:[1,0,0]
	v_pk_add_f32 v[128:129], v[130:131], v[118:119]
	v_mov_b32_e32 v125, v113
	v_pk_add_f32 v[218:219], v[206:207], v[124:125] neg_lo:[0,1] neg_hi:[0,1]
	s_waitcnt lgkmcnt(0)
	v_pk_fma_f32 v[128:129], v[128:129], 0.5, v[108:109] op_sel_hi:[1,0,1] neg_lo:[1,0,0] neg_hi:[1,0,0]
	v_pk_mul_f32 v[230:231], v[218:219], s[4:5] op_sel_hi:[1,0]
	v_pk_add_f32 v[236:237], v[206:207], v[130:131] neg_lo:[0,1] neg_hi:[0,1]
	v_pk_add_f32 v[238:239], v[124:125], v[118:119] neg_lo:[0,1] neg_hi:[0,1]
	v_pk_add_f32 v[112:113], v[108:109], v[206:207]
	v_pk_mul_f32 v[234:235], v[232:233], s[18:19] op_sel_hi:[1,0]
	v_pk_add_f32 v[236:237], v[236:237], v[238:239]
	v_pk_add_f32 v[238:239], v[128:129], v[230:231] op_sel:[0,1] op_sel_hi:[1,0]
	v_pk_add_f32 v[128:129], v[128:129], v[230:231] op_sel:[0,1] op_sel_hi:[1,0] neg_lo:[0,1] neg_hi:[0,1]
	v_pk_add_f32 v[112:113], v[112:113], v[130:131]
	v_pk_add_f32 v[128:129], v[128:129], v[234:235] op_sel:[0,1] op_sel_hi:[1,0] neg_lo:[0,1] neg_hi:[0,1]
	v_pk_add_f32 v[230:231], v[238:239], v[234:235] op_sel:[0,1] op_sel_hi:[1,0]
	v_pk_add_f32 v[112:113], v[112:113], v[118:119]
	v_mov_b32_e32 v234, v230
	v_mov_b32_e32 v235, v129
	v_pk_add_f32 v[112:113], v[112:113], v[124:125]
	v_pk_fma_f32 v[234:235], v[236:237], s[16:17], v[234:235] op_sel_hi:[1,0,1]
	s_waitcnt lgkmcnt(0)
	; wave barrier
	ds_write2_b64 v165, v[112:113], v[234:235] offset1:36
	v_pk_add_f32 v[112:113], v[206:207], v[124:125]
	v_pk_add_f32 v[118:119], v[118:119], v[124:125] neg_lo:[0,1] neg_hi:[0,1]
	v_pk_fma_f32 v[108:109], v[112:113], 0.5, v[108:109] op_sel_hi:[1,0,1] neg_lo:[1,0,0] neg_hi:[1,0,0]
	v_pk_add_f32 v[112:113], v[130:131], v[206:207] neg_lo:[0,1] neg_hi:[0,1]
	v_pk_mul_f32 v[124:125], v[218:219], s[18:19] op_sel_hi:[1,0]
	v_pk_add_f32 v[112:113], v[112:113], v[118:119]
	v_pk_mul_f32 v[118:119], v[232:233], s[4:5] op_sel_hi:[1,0]
	v_mov_b32_e32 v129, v231
	v_pk_add_f32 v[130:131], v[108:109], v[118:119] op_sel:[0,1] op_sel_hi:[1,0] neg_lo:[0,1] neg_hi:[0,1]
	v_pk_add_f32 v[108:109], v[108:109], v[118:119] op_sel:[0,1] op_sel_hi:[1,0]
	v_pk_add_f32 v[118:119], v[130:131], v[124:125] op_sel:[0,1] op_sel_hi:[1,0]
	v_pk_add_f32 v[108:109], v[108:109], v[124:125] op_sel:[0,1] op_sel_hi:[1,0] neg_lo:[0,1] neg_hi:[0,1]
	v_mov_b32_e32 v124, v118
	v_mov_b32_e32 v125, v109
	;; [unrolled: 1-line block ×3, first 2 shown]
	v_pk_fma_f32 v[124:125], v[112:113], s[16:17], v[124:125] op_sel_hi:[1,0,1]
	v_pk_fma_f32 v[108:109], v[112:113], s[16:17], v[108:109] op_sel_hi:[1,0,1]
	v_mov_b32_e32 v127, v115
	ds_write2_b64 v165, v[124:125], v[108:109] offset0:72 offset1:108
	v_pk_fma_f32 v[108:109], v[236:237], s[16:17], v[128:129] op_sel_hi:[1,0,1]
	ds_write_b64 v165, v[108:109] offset:1152
	v_pk_add_f32 v[108:109], v[166:167], v[120:121]
	v_pk_add_f32 v[112:113], v[168:169], v[126:127] neg_lo:[0,1] neg_hi:[0,1]
	v_pk_fma_f32 v[108:109], v[108:109], 0.5, v[110:111] op_sel_hi:[1,0,1] neg_lo:[1,0,0] neg_hi:[1,0,0]
	v_pk_mul_f32 v[118:119], v[112:113], s[4:5] op_sel_hi:[1,0]
	v_pk_add_f32 v[124:125], v[166:167], v[120:121] neg_lo:[0,1] neg_hi:[0,1]
	v_pk_add_f32 v[130:131], v[168:169], v[166:167] neg_lo:[0,1] neg_hi:[0,1]
	;; [unrolled: 1-line block ×3, first 2 shown]
	v_pk_add_f32 v[114:115], v[110:111], v[168:169]
	v_pk_mul_f32 v[128:129], v[124:125], s[18:19] op_sel_hi:[1,0]
	v_pk_add_f32 v[130:131], v[130:131], v[206:207]
	v_pk_add_f32 v[206:207], v[108:109], v[118:119] op_sel:[0,1] op_sel_hi:[1,0]
	v_pk_add_f32 v[108:109], v[108:109], v[118:119] op_sel:[0,1] op_sel_hi:[1,0] neg_lo:[0,1] neg_hi:[0,1]
	v_pk_add_f32 v[114:115], v[114:115], v[166:167]
	v_pk_add_f32 v[108:109], v[108:109], v[128:129] op_sel:[0,1] op_sel_hi:[1,0] neg_lo:[0,1] neg_hi:[0,1]
	v_pk_add_f32 v[118:119], v[206:207], v[128:129] op_sel:[0,1] op_sel_hi:[1,0]
	v_pk_add_f32 v[114:115], v[114:115], v[120:121]
	v_mov_b32_e32 v128, v118
	v_mov_b32_e32 v129, v109
	v_pk_add_f32 v[114:115], v[114:115], v[126:127]
	v_pk_fma_f32 v[128:129], v[130:131], s[16:17], v[128:129] op_sel_hi:[1,0,1]
	ds_write2_b64 v91, v[114:115], v[128:129] offset1:36
	v_pk_add_f32 v[114:115], v[168:169], v[126:127]
	v_pk_add_f32 v[120:121], v[120:121], v[126:127] neg_lo:[0,1] neg_hi:[0,1]
	v_pk_fma_f32 v[110:111], v[114:115], 0.5, v[110:111] op_sel_hi:[1,0,1] neg_lo:[1,0,0] neg_hi:[1,0,0]
	v_pk_add_f32 v[114:115], v[166:167], v[168:169] neg_lo:[0,1] neg_hi:[0,1]
	v_mov_b32_e32 v109, v119
	v_pk_add_f32 v[114:115], v[114:115], v[120:121]
	v_pk_mul_f32 v[120:121], v[124:125], s[4:5] op_sel_hi:[1,0]
	v_pk_mul_f32 v[112:113], v[112:113], s[18:19] op_sel_hi:[1,0]
	v_pk_add_f32 v[124:125], v[110:111], v[120:121] op_sel:[0,1] op_sel_hi:[1,0] neg_lo:[0,1] neg_hi:[0,1]
	v_pk_add_f32 v[110:111], v[110:111], v[120:121] op_sel:[0,1] op_sel_hi:[1,0]
	v_pk_fma_f32 v[108:109], v[130:131], s[16:17], v[108:109] op_sel_hi:[1,0,1]
	v_pk_add_f32 v[110:111], v[110:111], v[112:113] op_sel:[0,1] op_sel_hi:[1,0] neg_lo:[0,1] neg_hi:[0,1]
	v_pk_add_f32 v[112:113], v[124:125], v[112:113] op_sel:[0,1] op_sel_hi:[1,0]
	ds_write_b64 v91, v[108:109] offset:1152
	v_pk_add_f32 v[108:109], v[60:61], v[136:137]
	v_mov_b32_e32 v120, v112
	v_mov_b32_e32 v121, v111
	;; [unrolled: 1-line block ×3, first 2 shown]
	v_pk_add_f32 v[108:109], v[108:109], v[138:139]
	v_pk_fma_f32 v[120:121], v[114:115], s[16:17], v[120:121] op_sel_hi:[1,0,1]
	v_pk_fma_f32 v[110:111], v[114:115], s[16:17], v[110:111] op_sel_hi:[1,0,1]
	v_mul_u32_u24_e32 v89, 0xb4, v153
	v_pk_add_f32 v[108:109], v[108:109], v[140:141]
	v_mov_b32_e32 v151, v159
	ds_write2_b64 v91, v[120:121], v[110:111] offset0:72 offset1:108
	v_add_lshl_u32 v153, v89, v162, 3
	v_pk_add_f32 v[108:109], v[108:109], v[142:143]
	v_pk_fma_f32 v[110:111], v[148:149], s[16:17], v[150:151] op_sel_hi:[1,0,1]
	ds_write2_b64 v153, v[108:109], v[110:111] offset1:36
	v_pk_add_f32 v[108:109], v[136:137], v[142:143]
	v_pk_add_f32 v[110:111], v[140:141], v[142:143] neg_lo:[0,1] neg_hi:[0,1]
	v_pk_fma_f32 v[60:61], v[108:109], 0.5, v[60:61] op_sel_hi:[1,0,1] neg_lo:[1,0,0] neg_hi:[1,0,0]
	v_pk_add_f32 v[108:109], v[138:139], v[136:137] neg_lo:[0,1] neg_hi:[0,1]
	v_pk_mul_f32 v[104:105], v[106:107], s[16:17]
	v_pk_add_f32 v[108:109], v[108:109], v[110:111]
	v_pk_fma_f32 v[110:111], v[146:147], s[4:5], v[60:61] op_sel:[1,0,0] op_sel_hi:[0,0,1] neg_lo:[1,0,0] neg_hi:[1,0,0]
	v_pk_fma_f32 v[60:61], v[146:147], s[4:5], v[60:61] op_sel:[1,0,0] op_sel_hi:[0,0,1]
	v_pk_fma_f32 v[60:61], v[144:145], s[18:19], v[60:61] op_sel:[1,0,0] op_sel_hi:[0,0,1] neg_lo:[1,0,0] neg_hi:[1,0,0]
	v_pk_fma_f32 v[110:111], v[144:145], s[18:19], v[110:111] op_sel:[1,0,0] op_sel_hi:[0,0,1]
	v_mov_b32_e32 v112, v110
	v_mov_b32_e32 v113, v61
	;; [unrolled: 1-line block ×3, first 2 shown]
	v_pk_fma_f32 v[112:113], v[108:109], s[16:17], v[112:113] op_sel_hi:[1,0,1]
	v_pk_fma_f32 v[60:61], v[108:109], s[16:17], v[60:61] op_sel_hi:[1,0,1]
	ds_write2_b64 v153, v[112:113], v[60:61] offset0:72 offset1:108
	ds_write_b64 v153, v[116:117] offset:1152
	v_mul_u32_u24_e32 v60, 0xb4, v69
	v_add_lshl_u32 v157, v60, v85, 3
	v_pk_add_f32 v[60:61], v[92:93], v[96:97]
	v_mov_b32_e32 v95, v90
	v_pk_fma_f32 v[60:61], v[60:61], 0.5, v[62:63] op_sel_hi:[1,0,1] neg_lo:[1,0,0] neg_hi:[1,0,0]
	v_pk_mul_f32 v[62:63], v[98:99], s[4:5] op_sel:[1,0] op_sel_hi:[0,0]
	v_mov_b32_e32 v62, v63
	v_mov_b32_e32 v63, v94
	;; [unrolled: 1-line block ×3, first 2 shown]
	v_pk_mul_f32 v[102:103], v[102:103], s[16:17]
	v_accvgpr_write_b32 a54, v91
	v_pk_fma_f32 v[92:93], v[98:99], s[4:5], v[60:61] op_sel:[1,0,0] op_sel_hi:[0,0,1] neg_lo:[1,0,0] neg_hi:[1,0,0]
	v_pk_add_f32 v[62:63], v[62:63], v[94:95]
	v_mov_b32_e32 v90, v105
	v_mov_b32_e32 v91, v88
	;; [unrolled: 1-line block ×3, first 2 shown]
	v_pk_add_f32 v[88:89], v[62:63], v[90:91] neg_lo:[0,1] neg_hi:[0,1]
	v_pk_add_f32 v[62:63], v[62:63], v[90:91]
	v_mov_b32_e32 v100, v92
	v_mov_b32_e32 v86, v102
	;; [unrolled: 1-line block ×3, first 2 shown]
	v_pk_add_f32 v[62:63], v[100:101], v[70:71]
	v_mov_b32_e32 v160, v104
	v_mov_b32_e32 v161, v96
	v_pk_add_f32 v[234:235], v[62:63], v[86:87]
	v_pk_fma_f32 v[60:61], v[98:99], s[4:5], v[60:61] op_sel:[1,0,0] op_sel_hi:[0,0,1]
	v_mov_b32_e32 v62, v103
	v_mov_b32_e32 v63, v105
	v_pk_add_f32 v[232:233], v[88:89], v[160:161]
	v_pk_add_f32 v[60:61], v[60:61], v[62:63] neg_lo:[0,1] neg_hi:[0,1]
	v_pk_fma_f32 v[62:63], v[106:107], s[16:17], v[92:93]
	v_mov_b32_e32 v103, v104
	v_mov_b32_e32 v61, v63
	v_mov_b32_e32 v62, v233
	v_mov_b32_e32 v63, v235
	v_pk_add_f32 v[60:61], v[102:103], v[60:61]
	ds_write2_b64 v157, v[62:63], v[132:133] offset1:36
	v_mov_b32_e32 v62, v234
	v_mov_b32_e32 v63, v232
	ds_write2_b64 v157, v[62:63], v[60:61] offset0:72 offset1:108
	ds_write_b64 v157, v[122:123] offset:1152
	s_waitcnt lgkmcnt(0)
	; wave barrier
	s_waitcnt lgkmcnt(0)
	ds_read2_b64 v[112:115], v152 offset1:63
	ds_read2_b64 v[140:143], v134 offset0:104 offset1:167
	ds_read2_b64 v[128:131], v154 offset0:28 offset1:91
	;; [unrolled: 1-line block ×6, first 2 shown]
	v_cmp_gt_u16_e64 s[2:3], 54, v156
	v_cmp_lt_u16_e64 s[4:5], 53, v156
                                        ; implicit-def: $vgpr206_vgpr207
	s_and_saveexec_b64 s[16:17], s[4:5]
	s_xor_b64 s[4:5], exec, s[16:17]
; %bb.10:
	v_mov_b32_e32 v134, v60
	v_mov_b32_e32 v206, v61
	v_mov_b32_e32 v207, v68
; %bb.11:
	s_andn2_saveexec_b64 s[4:5], s[4:5]
	s_cbranch_execz .LBB0_13
; %bb.12:
	v_add_u32_e32 v1, 0x200, v152
	v_add_u32_e32 v60, 0xe00, v152
	ds_read2_b64 v[132:135], v60 offset0:38 offset1:218
	ds_read2_b64 v[116:119], v1 offset0:62 offset1:242
	v_add_u32_e32 v1, 0x1a00, v152
	ds_read2_b64 v[120:123], v1 offset0:14 offset1:194
	ds_read_b64 v[60:61], v152 offset:9648
	s_waitcnt lgkmcnt(3)
	v_mov_b32_e32 v234, v134
	s_waitcnt lgkmcnt(2)
	v_mov_b32_e32 v235, v119
	v_mov_b32_e32 v232, v135
	;; [unrolled: 1-line block ×3, first 2 shown]
	s_waitcnt lgkmcnt(1)
	v_mov_b32_e32 v134, v120
	s_waitcnt lgkmcnt(0)
	v_mov_b32_e32 v135, v61
	v_mov_b32_e32 v206, v121
	;; [unrolled: 1-line block ×3, first 2 shown]
.LBB0_13:
	s_or_b64 exec, exec, s[4:5]
	v_mad_u64_u32 v[60:61], s[4:5], v156, 48, s[14:15]
	s_mov_b64 s[4:5], 0x1160
	s_nop 0
	v_lshl_add_u64 v[62:63], v[60:61], 0, s[4:5]
	s_movk_i32 s4, 0x1000
	global_load_dwordx4 v[96:99], v[60:61], off offset:1456
	global_load_dwordx4 v[104:107], v[60:61], off offset:1440
	;; [unrolled: 1-line block ×3, first 2 shown]
	v_add_co_u32_e64 v60, s[4:5], s4, v60
	v_subrev_u32_e32 v1, 54, v156
	s_nop 0
	v_addc_co_u32_e64 v61, s[4:5], 0, v61, s[4:5]
	v_cndmask_b32_e64 v1, v1, v84, s[2:3]
	global_load_dwordx4 v[108:111], v[62:63], off offset:16
	global_load_dwordx4 v[92:95], v[60:61], off offset:352
	global_load_dwordx4 v[88:91], v[62:63], off offset:32
	v_mul_hi_i32_i24_e32 v61, 48, v1
	v_mul_i32_i24_e32 v60, 48, v1
	v_lshl_add_u64 v[68:69], s[14:15], 0, v[60:61]
	global_load_dwordx4 v[84:87], v[68:69], off offset:1440
	global_load_dwordx4 v[60:63], v[68:69], off offset:1424
	s_nop 0
	global_load_dwordx4 v[68:71], v[68:69], off offset:1456
	v_lshlrev_b32_e32 v1, 4, v211
	v_accvgpr_write_b32 a57, v1
	v_lshlrev_b32_e32 v1, 3, v203
	v_accvgpr_write_b32 a56, v1
	v_lshlrev_b32_e32 v1, 4, v217
	v_mov_b32_e32 v217, v216
	v_accvgpr_write_b32 a28, v216
	v_accvgpr_write_b32 a55, v1
	;; [unrolled: 1-line block ×3, first 2 shown]
	v_mov_b32_e32 v158, v233
	v_mov_b32_e32 v168, v207
	v_mov_b32_e32 v1, v232
	v_mov_b32_e32 v216, v132
	v_mov_b32_e32 v217, v232
	v_mov_b32_e32 v160, v133
	v_mov_b32_e32 v166, v123
	s_mov_b32 s4, 0x3d64c772
	s_mov_b32 s22, 0x3eae86e6
	;; [unrolled: 1-line block ×10, first 2 shown]
	v_mov_b32_e32 v171, v170
	v_accvgpr_write_b32 a24, v170
	v_accvgpr_write_b32 a25, v171
	v_mov_b32_e32 v173, v172
	v_accvgpr_write_b32 a26, v172
	v_accvgpr_write_b32 a27, v173
	s_mov_b32 s24, 0x3f5ff5aa
	s_mov_b32 s26, 0x3f3bfb3b
	v_mov_b32_e32 v120, v200
	v_mov_b32_e32 v121, v200
	;; [unrolled: 1-line block ×11, first 2 shown]
	s_waitcnt vmcnt(8) lgkmcnt(2)
	v_mul_f32_e32 v162, v137, v97
	s_waitcnt vmcnt(7)
	v_mul_f32_e32 v159, v145, v106
	v_mul_f32_e32 v161, v144, v107
	s_waitcnt vmcnt(6)
	v_mul_f32_e32 v154, v141, v103
	v_fma_f32 v218, v140, v102, -v154
	v_fma_f32 v154, v136, v96, -v162
	v_mul_f32_e32 v219, v129, v104
	s_waitcnt vmcnt(5)
	v_mul_f32_e32 v241, v147, v110
	v_mul_f32_e32 v243, v146, v111
	s_waitcnt vmcnt(4)
	v_mul_f32_e32 v162, v143, v95
	s_waitcnt vmcnt(3)
	;; [unrolled: 2-line block ×3, first 2 shown]
	v_mov_b32_e32 v230, v87
	v_mov_b32_e32 v231, v86
	s_waitcnt vmcnt(1)
	v_pk_mul_f32 v[86:87], v[234:235], v[60:61]
	s_waitcnt vmcnt(0)
	v_pk_mul_f32 v[244:245], v[134:135], v[70:71]
	v_mov_b32_e32 v86, v63
	v_mov_b32_e32 v248, v85
	;; [unrolled: 1-line block ×6, first 2 shown]
	v_pk_mul_f32 v[86:87], v[132:133], v[86:87]
	v_mov_b32_e32 v132, v245
	v_pk_mul_f32 v[232:233], v[232:233], v[248:249]
	v_pk_fma_f32 v[168:169], v[168:169], v[70:71], v[132:133] neg_lo:[0,0,1] neg_hi:[0,0,1]
	v_pk_fma_f32 v[248:249], v[234:235], v[246:247], v[232:233]
	v_pk_fma_f32 v[246:247], v[234:235], v[246:247], v[232:233] neg_lo:[0,0,1] neg_hi:[0,0,1]
	v_mov_b32_e32 v132, v133
	v_mov_b32_e32 v133, v234
	;; [unrolled: 1-line block ×7, first 2 shown]
	v_pk_mul_f32 v[132:133], v[132:133], v[234:235]
	v_pk_mul_f32 v[250:251], v[122:123], v[240:241]
	v_pk_fma_f32 v[234:235], v[0:1], v[84:85], v[132:133] op_sel:[0,1,0] op_sel_hi:[1,0,1]
	v_pk_fma_f32 v[216:217], v[216:217], v[252:253], v[132:133] neg_lo:[0,0,1] neg_hi:[0,0,1]
	v_mov_b32_e32 v132, v122
	v_mov_b32_e32 v122, v123
	;; [unrolled: 1-line block ×8, first 2 shown]
	v_pk_mul_f32 v[122:123], v[122:123], v[254:255]
	v_mov_b32_e32 v1, v206
	v_pk_fma_f32 v[252:253], v[132:133], v[252:253], v[122:123] neg_lo:[0,0,1] neg_hi:[0,0,1]
	v_mov_b32_e32 v132, v230
	v_mov_b32_e32 v133, v71
	v_pk_fma_f32 v[254:255], v[0:1], v[230:231], v[122:123]
	v_mov_b32_e32 v122, v231
	v_mov_b32_e32 v123, v70
	v_pk_mul_f32 v[132:133], v[206:207], v[132:133]
	v_pk_fma_f32 v[244:245], v[158:159], v[60:61], v[242:243] neg_lo:[0,0,1] neg_hi:[0,0,1]
	v_pk_fma_f32 v[86:87], v[160:161], v[62:63], v[86:87]
	v_pk_fma_f32 v[166:167], v[166:167], v[68:69], v[250:251]
	;; [unrolled: 1-line block ×3, first 2 shown]
	v_pk_fma_f32 v[134:135], v[134:135], v[122:123], v[132:133] neg_lo:[0,0,1] neg_hi:[0,0,1]
	v_pk_add_f32 v[250:251], v[86:87], v[166:167]
	v_mov_b32_e32 v247, v249
	v_mov_b32_e32 v135, v207
	;; [unrolled: 1-line block ×8, first 2 shown]
	v_pk_add_f32 v[232:233], v[244:245], v[168:169]
	v_pk_add_f32 v[122:123], v[122:123], v[132:133] neg_lo:[0,1] neg_hi:[0,1]
	v_pk_add_f32 v[132:133], v[86:87], v[166:167] neg_lo:[0,1] neg_hi:[0,1]
	v_pk_add_f32 v[86:87], v[246:247], v[134:135]
	v_mov_b32_e32 v168, v255
	v_mov_b32_e32 v169, v134
	;; [unrolled: 1-line block ×6, first 2 shown]
	v_pk_add_f32 v[168:169], v[168:169], v[134:135] neg_lo:[0,1] neg_hi:[0,1]
	v_pk_add_f32 v[166:167], v[216:217], v[252:253]
	v_mov_b32_e32 v244, v168
	v_mov_b32_e32 v245, v123
	;; [unrolled: 1-line block ×7, first 2 shown]
	v_pk_add_f32 v[234:235], v[86:87], v[166:167] neg_lo:[0,1] neg_hi:[0,1]
	v_mov_b32_e32 v166, v232
	v_mov_b32_e32 v87, v250
	v_pk_add_f32 v[246:247], v[168:169], v[132:133]
	v_pk_add_f32 v[244:245], v[244:245], v[248:249] neg_lo:[0,1] neg_hi:[0,1]
	v_mov_b32_e32 v248, v122
	v_mov_b32_e32 v169, v133
	v_pk_add_f32 v[206:207], v[134:135], v[232:233]
	v_pk_add_f32 v[216:217], v[166:167], v[86:87] neg_lo:[0,1] neg_hi:[0,1]
	v_pk_add_f32 v[168:169], v[248:249], v[168:169] neg_lo:[0,1] neg_hi:[0,1]
	v_mov_b32_e32 v87, v167
	v_pk_add_f32 v[86:87], v[86:87], v[206:207]
	v_pk_mul_f32 v[250:251], v[168:169], s[22:23]
	s_waitcnt lgkmcnt(1)
	v_pk_mul_f32 v[168:169], v[148:149], v[100:101] op_sel_hi:[1,0]
	v_pk_add_f32 v[248:249], v[116:117], v[86:87]
	v_pk_mul_f32 v[116:117], v[216:217], s[20:21]
	v_pk_fma_f32 v[216:217], v[148:149], v[100:101], v[168:169] op_sel:[0,1,1] op_sel_hi:[1,1,0]
	v_pk_fma_f32 v[148:149], v[148:149], v[100:101], v[168:169] op_sel:[0,1,1] op_sel_hi:[1,1,0] neg_lo:[1,0,0] neg_hi:[1,0,0]
	v_mov_b32_e32 v168, v141
	v_mov_b32_e32 v169, v144
	;; [unrolled: 1-line block ×5, first 2 shown]
	v_fma_f32 v238, v142, v94, -v162
	v_fma_f32 v236, v138, v88, -v163
	v_mov_b32_e32 v162, v102
	v_mov_b32_e32 v163, v106
	v_pk_mul_f32 v[140:141], v[140:141], v[144:145]
	v_mul_f32_e32 v155, v128, v105
	v_pk_fma_f32 v[144:145], v[168:169], v[102:103], v[140:141]
	v_pk_fma_f32 v[140:141], v[168:169], v[162:163], v[140:141] neg_lo:[0,0,1] neg_hi:[0,0,1]
	v_mov_b32_e32 v162, v137
	v_mov_b32_e32 v163, v128
	v_mov_b32_e32 v137, v129
	v_mov_b32_e32 v128, v97
	v_mov_b32_e32 v129, v105
	v_mov_b32_e32 v168, v96
	v_mov_b32_e32 v169, v104
	v_pk_mul_f32 v[128:129], v[136:137], v[128:129]
	v_pk_add_f32 v[252:253], v[246:247], v[122:123]
	v_pk_fma_f32 v[136:137], v[162:163], v[96:97], v[128:129]
	v_pk_fma_f32 v[128:129], v[162:163], v[168:169], v[128:129] neg_lo:[0,0,1] neg_hi:[0,0,1]
	s_waitcnt lgkmcnt(0)
	v_pk_mul_f32 v[162:163], v[124:125], v[98:99] op_sel_hi:[1,0]
	v_mov_b32_e32 v128, v99
	v_pk_fma_f32 v[246:247], v[86:87], s[18:19], v[248:249] op_sel_hi:[1,0,1] neg_lo:[1,0,0] neg_hi:[1,0,0]
	v_pk_fma_f32 v[86:87], v[234:235], s[4:5], v[116:117]
	v_pk_fma_f32 v[166:167], v[244:245], s[16:17], v[250:251]
	v_pk_fma_f32 v[168:169], v[124:125], v[128:129], v[162:163] op_sel:[0,0,1] op_sel_hi:[1,0,0]
	v_pk_fma_f32 v[124:125], v[124:125], v[128:129], v[162:163] op_sel:[0,0,1] op_sel_hi:[1,0,0] neg_lo:[1,0,0] neg_hi:[1,0,0]
	v_pk_add_f32 v[86:87], v[86:87], v[246:247]
	v_pk_fma_f32 v[166:167], v[252:253], s[14:15], v[166:167] op_sel_hi:[1,0,1]
	v_mov_b32_e32 v217, v149
	v_mov_b32_e32 v145, v141
	;; [unrolled: 1-line block ×6, first 2 shown]
	v_pk_add_f32 v[254:255], v[86:87], v[166:167]
	v_pk_add_f32 v[206:207], v[86:87], v[166:167] neg_lo:[0,1] neg_hi:[0,1]
	v_pk_add_f32 v[166:167], v[218:219], v[154:155]
	v_pk_add_f32 v[162:163], v[216:217], v[168:169]
	v_pk_add_f32 v[168:169], v[216:217], v[168:169] neg_lo:[0,1] neg_hi:[0,1]
	v_pk_add_f32 v[216:217], v[144:145], v[136:137]
	v_pk_add_f32 v[124:125], v[158:159], v[160:161]
	v_pk_add_f32 v[136:137], v[144:145], v[136:137] neg_lo:[0,1] neg_hi:[0,1]
	v_mov_b32_e32 v144, v125
	v_mov_b32_e32 v145, v218
	;; [unrolled: 1-line block ×8, first 2 shown]
	v_pk_add_f32 v[144:145], v[144:145], v[148:149] neg_lo:[0,1] neg_hi:[0,1]
	v_pk_add_f32 v[218:219], v[166:167], v[124:125]
	v_pk_add_f32 v[170:171], v[128:129], v[140:141]
	v_mov_b32_e32 v158, v144
	v_mov_b32_e32 v159, v169
	;; [unrolled: 1-line block ×6, first 2 shown]
	v_pk_add_f32 v[158:159], v[158:159], v[136:137] neg_lo:[0,1] neg_hi:[0,1]
	v_pk_add_f32 v[140:141], v[140:141], v[166:167] neg_lo:[0,1] neg_hi:[0,1]
	v_mov_b32_e32 v125, v219
	v_mov_b32_e32 v128, v170
	v_pk_add_f32 v[170:171], v[218:219], v[170:171]
	v_pk_add_f32 v[148:149], v[148:149], v[144:145] neg_lo:[0,1] neg_hi:[0,1]
	v_pk_mul_f32 v[158:159], v[158:159], s[16:17]
	v_pk_add_f32 v[160:161], v[136:137], v[144:145]
	v_pk_add_f32 v[128:129], v[124:125], v[128:129] neg_lo:[0,1] neg_hi:[0,1]
	v_pk_add_f32 v[112:113], v[112:113], v[170:171]
	v_pk_mul_f32 v[140:141], v[140:141], s[4:5]
	v_pk_mul_f32 v[154:155], v[148:149], s[22:23]
	v_pk_add_f32 v[160:161], v[160:161], v[168:169]
	v_pk_mul_f32 v[218:219], v[128:129], s[20:21]
	v_pk_fma_f32 v[170:171], v[170:171], s[18:19], v[112:113] op_sel_hi:[1,0,1] neg_lo:[1,0,0] neg_hi:[1,0,0]
	v_pk_fma_f32 v[128:129], v[128:129], s[20:21], v[140:141]
	v_pk_fma_f32 v[148:149], v[148:149], s[22:23], v[158:159]
	v_pk_add_f32 v[128:129], v[128:129], v[170:171]
	v_pk_fma_f32 v[148:149], v[160:161], s[14:15], v[148:149] op_sel_hi:[1,0,1]
	v_mov_b32_e32 v137, v145
	v_pk_add_f32 v[172:173], v[128:129], v[148:149]
	v_pk_add_f32 v[128:129], v[128:129], v[148:149] neg_lo:[0,1] neg_hi:[0,1]
	v_mov_b32_e32 v148, v172
	v_mov_b32_e32 v149, v129
	;; [unrolled: 1-line block ×4, first 2 shown]
	ds_write_b64 v152, v[148:149] offset:1440
	v_pk_add_f32 v[136:137], v[136:137], v[168:169] neg_lo:[0,1] neg_hi:[0,1]
	v_pk_add_f32 v[124:125], v[166:167], v[124:125] neg_lo:[0,1] neg_hi:[0,1]
	v_mov_b32_e32 v144, v218
	v_mov_b32_e32 v145, v141
	;; [unrolled: 1-line block ×6, first 2 shown]
	v_pk_fma_f32 v[144:145], v[124:125], s[26:27], v[144:145] op_sel_hi:[1,0,1] neg_lo:[1,0,1] neg_hi:[1,0,1]
	v_pk_fma_f32 v[148:149], v[136:137], s[24:25], v[148:149] op_sel_hi:[1,0,1] neg_lo:[1,0,1] neg_hi:[1,0,1]
	;; [unrolled: 1-line block ×4, first 2 shown]
	v_pk_add_f32 v[144:145], v[144:145], v[170:171]
	v_pk_fma_f32 v[148:149], v[160:161], s[14:15], v[148:149] op_sel_hi:[1,0,1]
	v_pk_add_f32 v[124:125], v[124:125], v[170:171]
	v_pk_fma_f32 v[136:137], v[160:161], s[14:15], v[136:137] op_sel_hi:[1,0,1]
	v_pk_add_f32 v[162:163], v[144:145], v[148:149]
	v_pk_add_f32 v[144:145], v[144:145], v[148:149] neg_lo:[0,1] neg_hi:[0,1]
	v_pk_add_f32 v[140:141], v[124:125], v[136:137] neg_lo:[0,1] neg_hi:[0,1]
	v_pk_add_f32 v[124:125], v[124:125], v[136:137]
	v_mov_b32_e32 v149, v145
	v_mov_b32_e32 v136, v140
	;; [unrolled: 1-line block ×10, first 2 shown]
	ds_write_b64 v152, v[144:145] offset:7200
	v_mov_b32_e32 v129, v173
	v_mov_b32_e32 v144, v94
	;; [unrolled: 1-line block ×3, first 2 shown]
	v_pk_mul_f32 v[142:143], v[142:143], v[146:147]
	v_mul_f32_e32 v239, v131, v108
	v_mul_f32_e32 v237, v130, v109
	ds_write_b64 v152, v[128:129] offset:8640
	v_pk_mul_f32 v[128:129], v[150:151], v[92:93] op_sel_hi:[1,0]
	v_pk_fma_f32 v[146:147], v[140:141], v[94:95], v[142:143]
	v_pk_fma_f32 v[140:141], v[140:141], v[144:145], v[142:143] neg_lo:[0,0,1] neg_hi:[0,0,1]
	v_mov_b32_e32 v142, v139
	v_mov_b32_e32 v143, v130
	;; [unrolled: 1-line block ×5, first 2 shown]
	ds_write_b64 v152, v[136:137] offset:4320
	v_pk_fma_f32 v[136:137], v[150:151], v[92:93], v[128:129] op_sel:[0,1,1] op_sel_hi:[1,1,0]
	v_pk_fma_f32 v[128:129], v[150:151], v[92:93], v[128:129] op_sel:[0,1,1] op_sel_hi:[1,1,0] neg_lo:[1,0,0] neg_hi:[1,0,0]
	v_mov_b32_e32 v144, v88
	v_mov_b32_e32 v145, v108
	v_pk_mul_f32 v[130:131], v[138:139], v[130:131]
	v_mov_b32_e32 v128, v91
	v_pk_fma_f32 v[138:139], v[142:143], v[88:89], v[130:131]
	v_pk_fma_f32 v[130:131], v[142:143], v[144:145], v[130:131] neg_lo:[0,0,1] neg_hi:[0,0,1]
	v_pk_mul_f32 v[142:143], v[126:127], v[90:91] op_sel_hi:[1,0]
	v_mov_b32_e32 v137, v129
	v_pk_fma_f32 v[144:145], v[126:127], v[128:129], v[142:143] op_sel:[0,0,1] op_sel_hi:[1,0,0]
	v_pk_fma_f32 v[126:127], v[126:127], v[128:129], v[142:143] op_sel:[0,0,1] op_sel_hi:[1,0,0] neg_lo:[1,0,0] neg_hi:[1,0,0]
	v_mov_b32_e32 v147, v141
	v_mov_b32_e32 v139, v131
	;; [unrolled: 1-line block ×5, first 2 shown]
	ds_write_b64 v152, v[124:125] offset:5760
	v_pk_add_f32 v[124:125], v[238:239], v[236:237]
	v_pk_add_f32 v[142:143], v[136:137], v[144:145]
	v_pk_add_f32 v[136:137], v[136:137], v[144:145] neg_lo:[0,1] neg_hi:[0,1]
	v_pk_add_f32 v[144:145], v[146:147], v[138:139]
	v_pk_add_f32 v[126:127], v[240:241], v[242:243]
	v_pk_add_f32 v[138:139], v[146:147], v[138:139] neg_lo:[0,1] neg_hi:[0,1]
	v_mov_b32_e32 v128, v127
	v_mov_b32_e32 v129, v238
	;; [unrolled: 1-line block ×8, first 2 shown]
	v_pk_add_f32 v[128:129], v[128:129], v[146:147] neg_lo:[0,1] neg_hi:[0,1]
	v_pk_add_f32 v[158:159], v[124:125], v[126:127]
	v_pk_add_f32 v[130:131], v[130:131], v[140:141]
	v_mov_b32_e32 v150, v128
	v_mov_b32_e32 v151, v137
	;; [unrolled: 1-line block ×6, first 2 shown]
	v_pk_add_f32 v[150:151], v[150:151], v[138:139] neg_lo:[0,1] neg_hi:[0,1]
	v_pk_add_f32 v[140:141], v[140:141], v[124:125] neg_lo:[0,1] neg_hi:[0,1]
	v_mov_b32_e32 v127, v159
	v_mov_b32_e32 v160, v130
	;; [unrolled: 1-line block ×3, first 2 shown]
	v_pk_add_f32 v[130:131], v[158:159], v[130:131]
	v_mov_b32_e32 v148, v162
	v_pk_add_f32 v[146:147], v[146:147], v[128:129] neg_lo:[0,1] neg_hi:[0,1]
	v_pk_mul_f32 v[150:151], v[150:151], s[16:17]
	v_pk_add_f32 v[154:155], v[138:139], v[128:129]
	v_pk_add_f32 v[160:161], v[126:127], v[160:161] neg_lo:[0,1] neg_hi:[0,1]
	v_pk_add_f32 v[114:115], v[114:115], v[130:131]
	v_pk_mul_f32 v[140:141], v[140:141], s[4:5]
	ds_write_b64 v152, v[148:149] offset:2880
	v_pk_mul_f32 v[148:149], v[146:147], s[22:23]
	v_pk_add_f32 v[154:155], v[154:155], v[136:137]
	v_pk_mul_f32 v[158:159], v[160:161], s[20:21]
	v_pk_fma_f32 v[130:131], v[130:131], s[18:19], v[114:115] op_sel_hi:[1,0,1] neg_lo:[1,0,0] neg_hi:[1,0,0]
	v_pk_fma_f32 v[160:161], v[160:161], s[20:21], v[140:141]
	v_pk_fma_f32 v[146:147], v[146:147], s[22:23], v[150:151]
	v_pk_add_f32 v[160:161], v[160:161], v[130:131]
	v_pk_fma_f32 v[146:147], v[154:155], s[14:15], v[146:147] op_sel_hi:[1,0,1]
	ds_write2_b64 v152, v[112:113], v[114:115] offset1:63
	v_pk_add_f32 v[162:163], v[160:161], v[146:147]
	v_pk_add_f32 v[146:147], v[160:161], v[146:147] neg_lo:[0,1] neg_hi:[0,1]
	v_mov_b32_e32 v112, v162
	v_mov_b32_e32 v113, v147
	;; [unrolled: 1-line block ×5, first 2 shown]
	ds_write_b64 v152, v[112:113] offset:1944
	v_pk_add_f32 v[112:113], v[138:139], v[136:137] neg_lo:[0,1] neg_hi:[0,1]
	v_pk_add_f32 v[114:115], v[124:125], v[126:127] neg_lo:[0,1] neg_hi:[0,1]
	v_mov_b32_e32 v124, v158
	v_mov_b32_e32 v125, v141
	;; [unrolled: 1-line block ×4, first 2 shown]
	v_pk_fma_f32 v[124:125], v[114:115], s[26:27], v[124:125] op_sel_hi:[1,0,1] neg_lo:[1,0,1] neg_hi:[1,0,1]
	v_pk_fma_f32 v[126:127], v[112:113], s[24:25], v[126:127] op_sel_hi:[1,0,1] neg_lo:[1,0,1] neg_hi:[1,0,1]
	v_pk_add_f32 v[124:125], v[124:125], v[130:131]
	v_pk_fma_f32 v[126:127], v[154:155], s[14:15], v[126:127] op_sel_hi:[1,0,1]
	v_mov_b32_e32 v141, v159
	v_mov_b32_e32 v151, v149
	v_pk_add_f32 v[128:129], v[124:125], v[126:127]
	v_pk_add_f32 v[124:125], v[124:125], v[126:127] neg_lo:[0,1] neg_hi:[0,1]
	v_pk_fma_f32 v[114:115], v[114:115], s[26:27], v[140:141] op_sel_hi:[1,0,1] neg_lo:[0,0,1] neg_hi:[0,0,1]
	v_pk_fma_f32 v[112:113], v[112:113], s[24:25], v[150:151] op_sel_hi:[1,0,1] neg_lo:[0,0,1] neg_hi:[0,0,1]
	v_mov_b32_e32 v126, v128
	v_mov_b32_e32 v127, v125
	v_pk_add_f32 v[114:115], v[114:115], v[130:131]
	v_pk_fma_f32 v[112:113], v[154:155], s[14:15], v[112:113] op_sel_hi:[1,0,1]
	ds_write_b64 v152, v[126:127] offset:3384
	v_pk_add_f32 v[126:127], v[114:115], v[112:113] neg_lo:[0,1] neg_hi:[0,1]
	v_pk_add_f32 v[112:113], v[114:115], v[112:113]
	v_mov_b32_e32 v86, v206
	v_mov_b32_e32 v87, v255
	v_mov_b32_e32 v114, v126
	v_mov_b32_e32 v115, v113
	v_mov_b32_e32 v113, v127
	v_mov_b32_e32 v125, v129
	v_mov_b32_e32 v147, v163
	ds_write_b64 v152, v[114:115] offset:4824
	ds_write_b64 v152, v[112:113] offset:6264
	;; [unrolled: 1-line block ×4, first 2 shown]
	s_and_saveexec_b64 s[18:19], s[2:3]
	s_cbranch_execz .LBB0_15
; %bb.14:
	v_pk_mul_f32 v[112:113], v[234:235], s[4:5]
	v_pk_mul_f32 v[124:125], v[244:245], s[16:17]
	v_mov_b32_e32 v126, v116
	v_mov_b32_e32 v127, v113
	v_pk_add_f32 v[128:129], v[134:135], v[232:233] neg_lo:[0,1] neg_hi:[0,1]
	v_pk_add_f32 v[122:123], v[132:133], v[122:123] neg_lo:[0,1] neg_hi:[0,1]
	v_mov_b32_e32 v130, v250
	v_mov_b32_e32 v131, v125
	;; [unrolled: 1-line block ×4, first 2 shown]
	v_pk_mul_f32 v[114:115], v[252:253], s[14:15] op_sel_hi:[1,0]
	v_pk_fma_f32 v[126:127], v[128:129], s[26:27], v[126:127] op_sel_hi:[1,0,1] neg_lo:[1,0,1] neg_hi:[1,0,1]
	v_pk_fma_f32 v[130:131], v[122:123], s[24:25], v[130:131] op_sel_hi:[1,0,1] neg_lo:[1,0,1] neg_hi:[1,0,1]
	;; [unrolled: 1-line block ×4, first 2 shown]
	v_pk_add_f32 v[126:127], v[126:127], v[246:247]
	v_pk_add_f32 v[130:131], v[114:115], v[130:131]
	;; [unrolled: 1-line block ×4, first 2 shown]
	v_mov_b32_e32 v255, v207
	v_add_u32_e32 v1, 0x200, v152
	v_pk_add_f32 v[132:133], v[126:127], v[130:131]
	v_pk_add_f32 v[126:127], v[126:127], v[130:131] neg_lo:[0,1] neg_hi:[0,1]
	v_pk_add_f32 v[116:117], v[112:113], v[114:115] neg_lo:[0,1] neg_hi:[0,1]
	v_pk_add_f32 v[112:113], v[112:113], v[114:115]
	ds_write2_b64 v1, v[248:249], v[254:255] offset0:62 offset1:242
	v_mov_b32_e32 v130, v132
	v_mov_b32_e32 v131, v127
	;; [unrolled: 1-line block ×4, first 2 shown]
	v_add_u32_e32 v1, 0xe00, v152
	ds_write2_b64 v1, v[130:131], v[114:115] offset0:38 offset1:218
	v_mov_b32_e32 v113, v117
	v_mov_b32_e32 v127, v133
	v_add_u32_e32 v1, 0x1a00, v152
	ds_write2_b64 v1, v[112:113], v[126:127] offset0:14 offset1:194
	ds_write_b64 v152, v[86:87] offset:9648
.LBB0_15:
	s_or_b64 exec, exec, s[18:19]
	v_lshlrev_b32_e32 v112, 3, v156
	v_mov_b32_e32 v113, 0
	v_lshl_add_u64 v[112:113], s[12:13], 0, v[112:113]
	s_movk_i32 s4, 0x2000
	s_mov_b64 s[12:13], 0x2760
	v_add_co_u32_e64 v114, s[4:5], s4, v112
	v_lshl_add_u64 v[116:117], v[112:113], 0, s[12:13]
	s_nop 0
	v_addc_co_u32_e64 v115, s[4:5], 0, v113, s[4:5]
	s_waitcnt lgkmcnt(0)
	; wave barrier
	s_waitcnt lgkmcnt(0)
	global_load_dwordx2 v[126:127], v[116:117], off offset:504
	global_load_dwordx2 v[122:123], v[114:115], off offset:1888
	s_movk_i32 s4, 0x3000
	v_add_co_u32_e64 v124, s[4:5], s4, v112
	v_mov_b32_e32 v236, v209
	s_nop 0
	v_addc_co_u32_e64 v125, s[4:5], 0, v113, s[4:5]
	global_load_dwordx2 v[130:131], v[124:125], off offset:2832
	global_load_dwordx2 v[132:133], v[124:125], off offset:3336
	;; [unrolled: 1-line block ×5, first 2 shown]
	s_movk_i32 s4, 0x4000
	v_add_co_u32_e64 v128, s[4:5], s4, v112
	v_mov_b32_e32 v237, v209
	s_nop 0
	v_addc_co_u32_e64 v129, s[4:5], 0, v113, s[4:5]
	global_load_dwordx2 v[140:141], v[128:129], off offset:248
	global_load_dwordx2 v[142:143], v[116:117], off offset:2016
	;; [unrolled: 1-line block ×7, first 2 shown]
	ds_read2_b64 v[112:115], v152 offset1:63
	global_load_dwordx2 v[162:163], v[116:117], off offset:3528
	s_nop 0
	global_load_dwordx2 v[116:117], v[116:117], off offset:4032
	s_nop 0
	global_load_dwordx2 v[166:167], v[124:125], off offset:2328
	global_load_dwordx2 v[168:169], v[128:129], off offset:2264
	;; [unrolled: 1-line block ×4, first 2 shown]
	v_add_u32_e32 v209, 0x1000, v152
	v_mov_b32_e32 v234, v213
	v_mov_b32_e32 v235, v213
	v_add_u32_e32 v213, 0x1400, v152
	v_mov_b32_e32 v232, v225
	v_mov_b32_e32 v233, v225
	v_add_u32_e32 v254, 0x1800, v152
	v_add_u32_e32 v255, 0x800, v152
	;; [unrolled: 1-line block ×3, first 2 shown]
	v_mov_b32_e32 v148, v4
	v_mov_b32_e32 v149, v4
	;; [unrolled: 1-line block ×15, first 2 shown]
	s_waitcnt vmcnt(19) lgkmcnt(0)
	v_mul_f32_e32 v128, v115, v127
	s_waitcnt vmcnt(18)
	v_mul_f32_e32 v124, v113, v123
	v_mul_f32_e32 v125, v112, v123
	v_fma_f32 v124, v112, v122, -v124
	v_fmac_f32_e32 v125, v113, v122
	ds_write_b64 v152, v[124:125]
	v_mul_f32_e32 v207, v114, v127
	ds_read2_b64 v[122:125], v209 offset0:118 offset1:181
	v_fma_f32 v206, v114, v126, -v128
	v_fmac_f32_e32 v207, v115, v126
	ds_read2_b64 v[112:115], v152 offset0:126 offset1:189
	ds_read2_b64 v[126:129], v213 offset0:116 offset1:179
	s_waitcnt vmcnt(17) lgkmcnt(2)
	v_mul_f32_e32 v216, v123, v131
	v_mul_f32_e32 v217, v122, v131
	s_waitcnt vmcnt(16)
	v_mul_f32_e32 v218, v125, v133
	v_mul_f32_e32 v131, v124, v133
	s_waitcnt vmcnt(15) lgkmcnt(1)
	v_mul_f32_e32 v219, v113, v135
	v_mul_f32_e32 v133, v112, v135
	s_waitcnt vmcnt(14) lgkmcnt(0)
	v_mul_f32_e32 v225, v127, v137
	v_mul_f32_e32 v135, v126, v137
	v_fma_f32 v216, v122, v130, -v216
	v_fmac_f32_e32 v217, v123, v130
	v_fma_f32 v130, v124, v132, -v218
	v_fmac_f32_e32 v131, v125, v132
	;; [unrolled: 2-line block ×3, first 2 shown]
	s_waitcnt vmcnt(13)
	v_mul_f32_e32 v137, v115, v139
	v_fma_f32 v134, v126, v136, -v225
	v_fmac_f32_e32 v135, v127, v136
	ds_write2_b64 v152, v[206:207], v[132:133] offset0:63 offset1:126
	ds_write2_b64 v209, v[130:131], v[134:135] offset0:181 offset1:244
	v_mul_f32_e32 v127, v114, v139
	v_add_u32_e32 v225, 0x400, v152
	v_fma_f32 v126, v114, v138, -v137
	v_fmac_f32_e32 v127, v115, v138
	ds_read2_b64 v[112:115], v225 offset0:124 offset1:187
	s_waitcnt vmcnt(12)
	v_mul_f32_e32 v122, v129, v141
	v_fma_f32 v130, v128, v140, -v122
	ds_read2_b64 v[122:125], v254 offset0:114 offset1:177
	v_mul_f32_e32 v131, v128, v141
	v_fmac_f32_e32 v131, v129, v140
	s_waitcnt vmcnt(11) lgkmcnt(1)
	v_mul_f32_e32 v128, v113, v143
	v_mul_f32_e32 v129, v112, v143
	v_fma_f32 v128, v112, v142, -v128
	v_fmac_f32_e32 v129, v113, v142
	s_waitcnt vmcnt(10) lgkmcnt(0)
	v_mul_f32_e32 v112, v123, v145
	v_mul_f32_e32 v113, v122, v145
	v_fma_f32 v112, v122, v144, -v112
	v_fmac_f32_e32 v113, v123, v144
	ds_write2_b64 v152, v[126:127], v[128:129] offset0:189 offset1:252
	ds_write2_b64 v254, v[130:131], v[112:113] offset0:51 offset1:114
	s_waitcnt vmcnt(9)
	v_mul_f32_e32 v112, v115, v147
	v_mul_f32_e32 v127, v114, v147
	v_fma_f32 v126, v114, v146, -v112
	v_fmac_f32_e32 v127, v115, v146
	ds_read2_b64 v[112:115], v255 offset0:122 offset1:185
	s_waitcnt vmcnt(8)
	v_mul_f32_e32 v122, v125, v155
	v_mul_f32_e32 v129, v124, v155
	v_fma_f32 v128, v124, v154, -v122
	v_fmac_f32_e32 v129, v125, v154
	ds_read2_b64 v[122:125], v227 offset0:112 offset1:175
	s_waitcnt vmcnt(6) lgkmcnt(1)
	v_mul_f32_e32 v130, v113, v159
	v_mul_f32_e32 v131, v112, v159
	v_fma_f32 v130, v112, v158, -v130
	v_fmac_f32_e32 v131, v113, v158
	s_waitcnt lgkmcnt(0)
	v_mul_f32_e32 v112, v123, v161
	v_mul_f32_e32 v113, v122, v161
	v_fma_f32 v112, v122, v160, -v112
	v_fmac_f32_e32 v113, v123, v160
	ds_write2_b64 v255, v[126:127], v[130:131] offset0:59 offset1:122
	ds_write2_b64 v254, v[128:129], v[112:113] offset0:177 offset1:240
	s_waitcnt vmcnt(5)
	v_mul_f32_e32 v112, v115, v163
	v_mul_f32_e32 v127, v114, v163
	v_add_u32_e32 v146, 0xc00, v152
	v_fma_f32 v126, v114, v162, -v112
	v_fmac_f32_e32 v127, v115, v162
	ds_read2_b64 v[112:115], v146 offset0:120 offset1:183
	s_waitcnt vmcnt(2)
	v_mul_f32_e32 v122, v125, v169
	v_mul_f32_e32 v129, v124, v169
	v_add_u32_e32 v162, 0x2000, v152
	v_fma_f32 v128, v124, v168, -v122
	v_fmac_f32_e32 v129, v125, v168
	ds_read2_b64 v[122:125], v162 offset0:110 offset1:173
	s_waitcnt lgkmcnt(1)
	v_mul_f32_e32 v130, v113, v117
	v_mul_f32_e32 v131, v112, v117
	v_fma_f32 v130, v112, v116, -v130
	v_fmac_f32_e32 v131, v113, v116
	s_waitcnt vmcnt(1) lgkmcnt(0)
	v_mul_f32_e32 v112, v123, v171
	v_mul_f32_e32 v113, v122, v171
	v_fma_f32 v112, v122, v170, -v112
	v_fmac_f32_e32 v113, v123, v170
	ds_write2_b64 v162, v[128:129], v[112:113] offset0:47 offset1:110
	v_mul_f32_e32 v112, v115, v167
	v_mul_f32_e32 v113, v114, v167
	v_fma_f32 v112, v114, v166, -v112
	v_fmac_f32_e32 v113, v115, v166
	ds_write2_b64 v209, v[112:113], v[216:217] offset0:55 offset1:118
	s_waitcnt vmcnt(0)
	v_mul_f32_e32 v112, v125, v173
	v_mul_f32_e32 v113, v124, v173
	v_fma_f32 v112, v124, v172, -v112
	v_fmac_f32_e32 v113, v125, v172
	ds_write2_b64 v255, v[126:127], v[130:131] offset0:185 offset1:248
	ds_write_b64 v152, v[112:113] offset:9576
	s_waitcnt lgkmcnt(0)
	; wave barrier
	s_waitcnt lgkmcnt(0)
	ds_read2_b64 v[112:115], v152 offset1:63
	ds_read2_b64 v[122:125], v209 offset0:118 offset1:181
	ds_read2_b64 v[130:133], v152 offset0:126 offset1:189
	;; [unrolled: 1-line block ×3, first 2 shown]
	v_mov_b32_e32 v206, v10
	v_mov_b32_e32 v207, v10
	;; [unrolled: 1-line block ×3, first 2 shown]
	s_waitcnt lgkmcnt(2)
	v_pk_add_f32 v[128:129], v[112:113], v[122:123] neg_lo:[0,1] neg_hi:[0,1]
	v_pk_add_f32 v[116:117], v[114:115], v[124:125] neg_lo:[0,1] neg_hi:[0,1]
	ds_read2_b64 v[122:125], v225 offset0:124 offset1:187
	ds_read2_b64 v[138:141], v254 offset0:114 offset1:177
	v_pk_fma_f32 v[126:127], v[112:113], 2.0, v[128:129] op_sel_hi:[1,0,1] neg_lo:[0,0,1] neg_hi:[0,0,1]
	ds_read2_b64 v[242:245], v255 offset0:122 offset1:185
	ds_read2_b64 v[246:249], v227 offset0:112 offset1:175
	v_accvgpr_read_b32 v112, a16
	v_pk_fma_f32 v[114:115], v[114:115], 2.0, v[116:117] op_sel_hi:[1,0,1] neg_lo:[0,0,1] neg_hi:[0,0,1]
	s_waitcnt lgkmcnt(2)
	v_pk_add_f32 v[138:139], v[122:123], v[138:139] neg_lo:[0,1] neg_hi:[0,1]
	v_pk_add_f32 v[252:253], v[124:125], v[140:141] neg_lo:[0,1] neg_hi:[0,1]
	;; [unrolled: 1-line block ×4, first 2 shown]
	v_pk_fma_f32 v[136:137], v[122:123], 2.0, v[138:139] op_sel_hi:[1,0,1] neg_lo:[0,0,1] neg_hi:[0,0,1]
	v_pk_fma_f32 v[250:251], v[124:125], 2.0, v[252:253] op_sel_hi:[1,0,1] neg_lo:[0,0,1] neg_hi:[0,0,1]
	ds_read2_b64 v[122:125], v146 offset0:120 offset1:183
	ds_read2_b64 v[158:161], v162 offset0:110 offset1:173
	s_waitcnt lgkmcnt(0)
	; wave barrier
	s_waitcnt lgkmcnt(0)
	ds_write_b128 v112, v[126:129]
	v_accvgpr_read_b32 v112, a18
	v_pk_fma_f32 v[142:143], v[130:131], 2.0, v[144:145] op_sel_hi:[1,0,1] neg_lo:[0,0,1] neg_hi:[0,0,1]
	ds_write_b128 v112, v[114:117]
	v_accvgpr_read_b32 v112, a17
	v_pk_fma_f32 v[132:133], v[132:133], 2.0, v[134:135] op_sel_hi:[1,0,1] neg_lo:[0,0,1] neg_hi:[0,0,1]
	ds_write_b128 v112, v[142:145]
	v_accvgpr_read_b32 v112, a20
	ds_write_b128 v112, v[132:135]
	v_accvgpr_read_b32 v112, a19
	v_pk_add_f32 v[218:219], v[242:243], v[246:247] neg_lo:[0,1] neg_hi:[0,1]
	ds_write_b128 v112, v[136:139]
	v_accvgpr_read_b32 v112, a22
	v_pk_fma_f32 v[216:217], v[242:243], 2.0, v[218:219] op_sel_hi:[1,0,1] neg_lo:[0,0,1] neg_hi:[0,0,1]
	v_pk_add_f32 v[246:247], v[244:245], v[248:249] neg_lo:[0,1] neg_hi:[0,1]
	ds_write_b128 v112, v[250:253]
	v_accvgpr_read_b32 v112, a21
	v_pk_fma_f32 v[244:245], v[244:245], 2.0, v[246:247] op_sel_hi:[1,0,1] neg_lo:[0,0,1] neg_hi:[0,0,1]
	;; [unrolled: 4-line block ×4, first 2 shown]
	ds_write_b128 v112, v[166:169]
	v_accvgpr_read_b32 v112, a55
	ds_write_b128 v112, v[158:161]
	s_waitcnt lgkmcnt(0)
	; wave barrier
	s_waitcnt lgkmcnt(0)
	ds_read2_b64 v[112:115], v162 offset0:110 offset1:173
	v_accvgpr_read_b32 v117, a25
	v_accvgpr_read_b32 v116, a24
	ds_read2_b64 v[122:125], v146 offset0:120 offset1:183
	v_accvgpr_read_b32 v135, a27
	s_waitcnt lgkmcnt(1)
	v_pk_mul_f32 v[116:117], v[116:117], v[114:115]
	v_accvgpr_read_b32 v134, a26
	v_pk_fma_f32 v[126:127], v[120:121], v[114:115], v[116:117] op_sel:[0,0,1] op_sel_hi:[1,1,0]
	v_pk_fma_f32 v[114:115], v[120:121], v[114:115], v[116:117] op_sel:[0,0,1] op_sel_hi:[1,1,0] neg_lo:[0,0,1] neg_hi:[0,0,1]
	v_accvgpr_read_b32 v143, a29
	v_mov_b32_e32 v127, v115
	v_pk_mul_f32 v[114:115], v[198:199], v[112:113]
	s_waitcnt lgkmcnt(0)
	v_pk_add_f32 v[244:245], v[124:125], v[126:127] neg_lo:[0,1] neg_hi:[0,1]
	v_pk_fma_f32 v[116:117], v[118:119], v[112:113], v[114:115] op_sel:[0,0,1] op_sel_hi:[1,1,0]
	v_pk_fma_f32 v[120:121], v[118:119], v[112:113], v[114:115] op_sel:[0,0,1] op_sel_hi:[1,1,0] neg_lo:[0,0,1] neg_hi:[0,0,1]
	ds_read2_b64 v[112:115], v227 offset0:112 offset1:175
	v_mov_b32_e32 v117, v121
	v_pk_add_f32 v[116:117], v[122:123], v[116:117] neg_lo:[0,1] neg_hi:[0,1]
	v_pk_fma_f32 v[242:243], v[124:125], 2.0, v[244:245] op_sel_hi:[1,0,1] neg_lo:[0,0,1] neg_hi:[0,0,1]
	v_pk_fma_f32 v[124:125], v[122:123], 2.0, v[116:117] op_sel_hi:[1,0,1] neg_lo:[0,0,1] neg_hi:[0,0,1]
	ds_read2_b64 v[120:123], v255 offset0:122 offset1:185
	s_waitcnt lgkmcnt(1)
	v_pk_mul_f32 v[126:127], v[220:221], v[114:115]
	v_accvgpr_read_b32 v142, a28
	v_pk_fma_f32 v[128:129], v[204:205], v[114:115], v[126:127] op_sel:[0,0,1] op_sel_hi:[1,1,0]
	v_pk_fma_f32 v[114:115], v[204:205], v[114:115], v[126:127] op_sel:[0,0,1] op_sel_hi:[1,1,0] neg_lo:[0,0,1] neg_hi:[0,0,1]
	s_nop 0
	v_mov_b32_e32 v129, v115
	s_waitcnt lgkmcnt(0)
	v_pk_add_f32 v[126:127], v[122:123], v[128:129] neg_lo:[0,1] neg_hi:[0,1]
	v_pk_mul_f32 v[114:115], v[198:199], v[112:113]
	v_pk_fma_f32 v[128:129], v[122:123], 2.0, v[126:127] op_sel_hi:[1,0,1] neg_lo:[0,0,1] neg_hi:[0,0,1]
	v_pk_fma_f32 v[122:123], v[118:119], v[112:113], v[114:115] op_sel:[0,0,1] op_sel_hi:[1,1,0]
	v_pk_fma_f32 v[130:131], v[118:119], v[112:113], v[114:115] op_sel:[0,0,1] op_sel_hi:[1,1,0] neg_lo:[0,0,1] neg_hi:[0,0,1]
	ds_read2_b64 v[112:115], v254 offset0:114 offset1:177
	v_mov_b32_e32 v123, v131
	v_pk_add_f32 v[130:131], v[120:121], v[122:123] neg_lo:[0,1] neg_hi:[0,1]
	s_waitcnt lgkmcnt(0)
	v_pk_mul_f32 v[134:135], v[134:135], v[114:115]
	v_pk_fma_f32 v[132:133], v[120:121], 2.0, v[130:131] op_sel_hi:[1,0,1] neg_lo:[0,0,1] neg_hi:[0,0,1]
	ds_read2_b64 v[120:123], v225 offset0:124 offset1:187
	v_pk_fma_f32 v[136:137], v[202:203], v[114:115], v[134:135] op_sel:[0,0,1] op_sel_hi:[1,1,0]
	v_pk_fma_f32 v[114:115], v[202:203], v[114:115], v[134:135] op_sel:[0,0,1] op_sel_hi:[1,1,0] neg_lo:[0,0,1] neg_hi:[0,0,1]
	s_nop 0
	v_mov_b32_e32 v137, v115
	s_waitcnt lgkmcnt(0)
	v_pk_add_f32 v[134:135], v[122:123], v[136:137] neg_lo:[0,1] neg_hi:[0,1]
	v_pk_mul_f32 v[114:115], v[198:199], v[112:113]
	v_pk_fma_f32 v[136:137], v[122:123], 2.0, v[134:135] op_sel_hi:[1,0,1] neg_lo:[0,0,1] neg_hi:[0,0,1]
	v_pk_fma_f32 v[122:123], v[118:119], v[112:113], v[114:115] op_sel:[0,0,1] op_sel_hi:[1,1,0]
	v_pk_fma_f32 v[138:139], v[118:119], v[112:113], v[114:115] op_sel:[0,0,1] op_sel_hi:[1,1,0] neg_lo:[0,0,1] neg_hi:[0,0,1]
	ds_read2_b64 v[112:115], v213 offset0:116 offset1:179
	v_mov_b32_e32 v123, v139
	v_pk_add_f32 v[138:139], v[120:121], v[122:123] neg_lo:[0,1] neg_hi:[0,1]
	v_mov_b32_e32 v213, v212
	v_pk_fma_f32 v[140:141], v[120:121], 2.0, v[138:139] op_sel_hi:[1,0,1] neg_lo:[0,0,1] neg_hi:[0,0,1]
	ds_read2_b64 v[120:123], v152 offset0:126 offset1:189
	s_waitcnt lgkmcnt(1)
	v_pk_mul_f32 v[142:143], v[142:143], v[114:115]
	s_nop 0
	v_pk_fma_f32 v[144:145], v[214:215], v[114:115], v[142:143] op_sel:[0,0,1] op_sel_hi:[1,1,0]
	v_pk_fma_f32 v[114:115], v[214:215], v[114:115], v[142:143] op_sel:[0,0,1] op_sel_hi:[1,1,0] neg_lo:[0,0,1] neg_hi:[0,0,1]
	s_nop 0
	v_mov_b32_e32 v145, v115
	s_waitcnt lgkmcnt(0)
	v_pk_add_f32 v[142:143], v[122:123], v[144:145] neg_lo:[0,1] neg_hi:[0,1]
	v_pk_mul_f32 v[114:115], v[198:199], v[112:113]
	v_pk_fma_f32 v[144:145], v[122:123], 2.0, v[142:143] op_sel_hi:[1,0,1] neg_lo:[0,0,1] neg_hi:[0,0,1]
	v_pk_fma_f32 v[122:123], v[118:119], v[112:113], v[114:115] op_sel:[0,0,1] op_sel_hi:[1,1,0]
	v_pk_fma_f32 v[146:147], v[118:119], v[112:113], v[114:115] op_sel:[0,0,1] op_sel_hi:[1,1,0] neg_lo:[0,0,1] neg_hi:[0,0,1]
	ds_read2_b64 v[112:115], v209 offset0:118 offset1:181
	v_mov_b32_e32 v123, v147
	v_pk_add_f32 v[146:147], v[120:121], v[122:123] neg_lo:[0,1] neg_hi:[0,1]
	s_waitcnt lgkmcnt(0)
	v_pk_mul_f32 v[158:159], v[200:201], v[114:115]
	v_pk_fma_f32 v[154:155], v[120:121], 2.0, v[146:147] op_sel_hi:[1,0,1] neg_lo:[0,0,1] neg_hi:[0,0,1]
	ds_read2_b64 v[120:123], v152 offset1:63
	v_pk_fma_f32 v[160:161], v[210:211], v[114:115], v[158:159] op_sel:[0,0,1] op_sel_hi:[1,1,0]
	v_pk_fma_f32 v[114:115], v[210:211], v[114:115], v[158:159] op_sel:[0,0,1] op_sel_hi:[1,1,0] neg_lo:[0,0,1] neg_hi:[0,0,1]
	v_pk_mul_f32 v[158:159], v[198:199], v[112:113]
	v_mov_b32_e32 v161, v115
	s_waitcnt lgkmcnt(0)
	v_pk_add_f32 v[114:115], v[122:123], v[160:161] neg_lo:[0,1] neg_hi:[0,1]
	v_pk_fma_f32 v[160:161], v[118:119], v[112:113], v[158:159] op_sel:[0,0,1] op_sel_hi:[1,1,0]
	v_pk_fma_f32 v[112:113], v[118:119], v[112:113], v[158:159] op_sel:[0,0,1] op_sel_hi:[1,1,0] neg_lo:[0,0,1] neg_hi:[0,0,1]
	v_pk_fma_f32 v[122:123], v[122:123], 2.0, v[114:115] op_sel_hi:[1,0,1] neg_lo:[0,0,1] neg_hi:[0,0,1]
	v_mov_b32_e32 v161, v113
	v_pk_add_f32 v[112:113], v[120:121], v[160:161] neg_lo:[0,1] neg_hi:[0,1]
	s_nop 0
	v_pk_fma_f32 v[118:119], v[120:121], 2.0, v[112:113] op_sel_hi:[1,0,1] neg_lo:[0,0,1] neg_hi:[0,0,1]
	v_accvgpr_read_b32 v120, a30
	; wave barrier
	ds_write2_b64 v120, v[118:119], v[112:113] offset1:2
	v_accvgpr_read_b32 v112, a31
	ds_write2_b64 v112, v[122:123], v[114:115] offset1:2
	v_accvgpr_read_b32 v112, a32
	;; [unrolled: 2-line block ×9, first 2 shown]
	ds_write2_b64 v112, v[242:243], v[244:245] offset1:2
	s_waitcnt lgkmcnt(0)
	; wave barrier
	s_waitcnt lgkmcnt(0)
	ds_read2_b64 v[136:139], v152 offset1:63
	ds_read2_b64 v[144:147], v255 offset0:164 offset1:227
	ds_read2_b64 v[140:143], v254 offset0:72 offset1:135
	;; [unrolled: 1-line block ×8, first 2 shown]
	v_mov_b32_e32 v225, v224
	v_mov_b32_e32 v209, v208
	;; [unrolled: 1-line block ×3, first 2 shown]
	s_and_saveexec_b64 s[4:5], vcc
	s_cbranch_execz .LBB0_17
; %bb.16:
	ds_read_b64 v[242:243], v152 offset:3024
	ds_read_b64 v[244:245], v152 offset:6384
	ds_read_b64 v[86:87], v152 offset:9744
.LBB0_17:
	s_or_b64 exec, exec, s[4:5]
	s_waitcnt lgkmcnt(1)
	v_pk_mul_f32 v[198:199], v[12:13], v[244:245] op_sel:[0,1]
	s_waitcnt lgkmcnt(0)
	v_mov_b32_e32 v200, v87
	v_pk_mul_f32 v[200:201], v[14:15], v[200:201] op_sel_hi:[1,0]
	v_pk_fma_f32 v[202:203], v[12:13], v[244:245], v[198:199] op_sel:[0,0,1] op_sel_hi:[1,1,0]
	v_pk_fma_f32 v[12:13], v[12:13], v[244:245], v[198:199] op_sel:[0,0,1] op_sel_hi:[1,0,0] neg_lo:[1,0,0] neg_hi:[1,0,0]
	s_mov_b32 s4, 0x3f5db3d7
	v_mov_b32_e32 v203, v13
	v_pk_fma_f32 v[12:13], v[14:15], v[86:87], v[200:201] op_sel:[0,0,1] op_sel_hi:[1,1,0]
	v_pk_fma_f32 v[14:15], v[14:15], v[86:87], v[200:201] op_sel:[0,0,1] op_sel_hi:[1,0,0] neg_lo:[1,0,0] neg_hi:[1,0,0]
	v_pk_mul_f32 v[154:155], v[4:5], v[144:145]
	v_mov_b32_e32 v13, v15
	v_pk_add_f32 v[14:15], v[202:203], v[242:243]
	v_pk_mul_f32 v[158:159], v[6:7], v[140:141]
	v_pk_add_f32 v[86:87], v[14:15], v[12:13]
	v_pk_add_f32 v[14:15], v[202:203], v[12:13]
	v_pk_add_f32 v[12:13], v[202:203], v[12:13] neg_lo:[0,1] neg_hi:[0,1]
	v_pk_fma_f32 v[14:15], v[14:15], 0.5, v[242:243] op_sel_hi:[1,0,1] neg_lo:[1,0,0] neg_hi:[1,0,0]
	v_pk_mul_f32 v[12:13], v[12:13], s[4:5] op_sel_hi:[1,0]
	v_pk_mul_f32 v[160:161], v[234:235], v[146:147]
	v_pk_add_f32 v[198:199], v[12:13], v[14:15] op_sel:[1,0] op_sel_hi:[0,1]
	v_pk_add_f32 v[200:201], v[14:15], v[12:13] op_sel:[0,1] op_sel_hi:[1,0] neg_lo:[0,1] neg_hi:[0,1]
	v_pk_fma_f32 v[12:13], v[148:149], v[144:145], v[154:155] op_sel:[0,0,1] op_sel_hi:[1,1,0]
	v_pk_fma_f32 v[14:15], v[148:149], v[144:145], v[154:155] op_sel:[0,0,1] op_sel_hi:[1,1,0] neg_lo:[0,0,1] neg_hi:[0,0,1]
	v_pk_mul_f32 v[162:163], v[236:237], v[142:143]
	v_mov_b32_e32 v13, v15
	v_pk_fma_f32 v[14:15], v[150:151], v[140:141], v[158:159] op_sel:[0,0,1] op_sel_hi:[1,1,0]
	v_pk_fma_f32 v[140:141], v[150:151], v[140:141], v[158:159] op_sel:[0,0,1] op_sel_hi:[1,1,0] neg_lo:[0,0,1] neg_hi:[0,0,1]
	s_nop 0
	v_mov_b32_e32 v15, v141
	v_pk_add_f32 v[140:141], v[136:137], v[12:13]
	v_pk_add_f32 v[144:145], v[12:13], v[14:15]
	v_pk_add_f32 v[12:13], v[12:13], v[14:15] neg_lo:[0,1] neg_hi:[0,1]
	v_pk_fma_f32 v[136:137], v[144:145], 0.5, v[136:137] op_sel_hi:[1,0,1] neg_lo:[1,0,0] neg_hi:[1,0,0]
	v_pk_mul_f32 v[12:13], v[12:13], s[4:5] op_sel_hi:[1,0]
	v_pk_add_f32 v[140:141], v[140:141], v[14:15]
	v_pk_add_f32 v[14:15], v[136:137], v[12:13] op_sel:[0,1] op_sel_hi:[1,0] neg_lo:[0,1] neg_hi:[0,1]
	v_pk_add_f32 v[12:13], v[136:137], v[12:13] op_sel:[0,1] op_sel_hi:[1,0]
	v_mov_b32_e32 v136, v14
	v_mov_b32_e32 v137, v13
	v_accvgpr_read_b32 v14, a40
	v_mov_b32_e32 v13, v15
	; wave barrier
	ds_write2_b64 v14, v[140:141], v[136:137] offset1:4
	ds_write_b64 v14, v[12:13] offset:64
	v_pk_fma_f32 v[12:13], v[222:223], v[146:147], v[160:161] op_sel:[0,0,1] op_sel_hi:[1,1,0]
	v_pk_fma_f32 v[14:15], v[222:223], v[146:147], v[160:161] op_sel:[0,0,1] op_sel_hi:[1,1,0] neg_lo:[0,0,1] neg_hi:[0,0,1]
	v_pk_fma_f32 v[136:137], v[232:233], v[142:143], v[162:163] op_sel:[0,0,1] op_sel_hi:[1,1,0] neg_lo:[0,0,1] neg_hi:[0,0,1]
	v_mov_b32_e32 v13, v15
	v_pk_fma_f32 v[14:15], v[232:233], v[142:143], v[162:163] op_sel:[0,0,1] op_sel_hi:[1,1,0]
	v_pk_mul_f32 v[166:167], v[238:239], v[132:133]
	v_mov_b32_e32 v15, v137
	v_pk_add_f32 v[136:137], v[138:139], v[12:13]
	v_pk_add_f32 v[140:141], v[12:13], v[14:15]
	v_pk_add_f32 v[12:13], v[12:13], v[14:15] neg_lo:[0,1] neg_hi:[0,1]
	v_pk_fma_f32 v[138:139], v[140:141], 0.5, v[138:139] op_sel_hi:[1,0,1] neg_lo:[1,0,0] neg_hi:[1,0,0]
	v_pk_mul_f32 v[12:13], v[12:13], s[4:5] op_sel_hi:[1,0]
	v_pk_add_f32 v[136:137], v[136:137], v[14:15]
	v_pk_add_f32 v[14:15], v[138:139], v[12:13] op_sel:[0,1] op_sel_hi:[1,0] neg_lo:[0,1] neg_hi:[0,1]
	v_pk_add_f32 v[12:13], v[138:139], v[12:13] op_sel:[0,1] op_sel_hi:[1,0]
	v_mov_b32_e32 v138, v14
	v_mov_b32_e32 v139, v13
	v_accvgpr_read_b32 v14, a41
	v_mov_b32_e32 v13, v15
	v_pk_mul_f32 v[168:169], v[228:229], v[128:129]
	ds_write_b64 v14, v[12:13] offset:64
	v_pk_fma_f32 v[12:13], v[0:1], v[132:133], v[166:167] op_sel:[0,0,1] op_sel_hi:[1,1,0]
	v_pk_fma_f32 v[0:1], v[0:1], v[132:133], v[166:167] op_sel:[0,0,1] op_sel_hi:[1,1,0] neg_lo:[0,0,1] neg_hi:[0,0,1]
	ds_write2_b64 v14, v[136:137], v[138:139] offset1:4
	v_mov_b32_e32 v13, v1
	v_pk_fma_f32 v[0:1], v[2:3], v[128:129], v[168:169] op_sel:[0,0,1] op_sel_hi:[1,1,0]
	v_pk_fma_f32 v[2:3], v[2:3], v[128:129], v[168:169] op_sel:[0,0,1] op_sel_hi:[1,1,0] neg_lo:[0,0,1] neg_hi:[0,0,1]
	v_pk_mul_f32 v[8:9], v[8:9], v[134:135]
	v_mov_b32_e32 v1, v3
	v_pk_add_f32 v[2:3], v[124:125], v[12:13]
	v_pk_add_f32 v[14:15], v[12:13], v[0:1]
	;; [unrolled: 1-line block ×3, first 2 shown]
	v_pk_add_f32 v[0:1], v[12:13], v[0:1] neg_lo:[0,1] neg_hi:[0,1]
	v_pk_fma_f32 v[14:15], v[14:15], 0.5, v[124:125] op_sel_hi:[1,0,1] neg_lo:[1,0,0] neg_hi:[1,0,0]
	v_pk_mul_f32 v[0:1], v[0:1], s[4:5] op_sel_hi:[1,0]
	v_pk_mul_f32 v[10:11], v[10:11], v[130:131]
	v_pk_add_f32 v[12:13], v[14:15], v[0:1] op_sel:[0,1] op_sel_hi:[1,0] neg_lo:[0,1] neg_hi:[0,1]
	v_pk_add_f32 v[0:1], v[14:15], v[0:1] op_sel:[0,1] op_sel_hi:[1,0]
	v_mov_b32_e32 v14, v12
	v_mov_b32_e32 v15, v1
	v_accvgpr_read_b32 v12, a43
	v_mov_b32_e32 v1, v13
	ds_write2_b64 v12, v[2:3], v[14:15] offset1:4
	ds_write_b64 v12, v[0:1] offset:64
	v_pk_fma_f32 v[0:1], v[240:241], v[134:135], v[8:9] op_sel:[0,0,1] op_sel_hi:[1,1,0]
	v_pk_fma_f32 v[2:3], v[240:241], v[134:135], v[8:9] op_sel:[0,0,1] op_sel_hi:[1,1,0] neg_lo:[0,0,1] neg_hi:[0,0,1]
	v_pk_fma_f32 v[8:9], v[206:207], v[130:131], v[10:11] op_sel:[0,0,1] op_sel_hi:[1,1,0] neg_lo:[0,0,1] neg_hi:[0,0,1]
	v_mov_b32_e32 v1, v3
	v_pk_fma_f32 v[2:3], v[206:207], v[130:131], v[10:11] op_sel:[0,0,1] op_sel_hi:[1,1,0]
	v_pk_mul_f32 v[4:5], v[4:5], v[120:121]
	v_mov_b32_e32 v3, v9
	v_pk_add_f32 v[8:9], v[126:127], v[0:1]
	v_pk_add_f32 v[10:11], v[0:1], v[2:3]
	v_pk_add_f32 v[0:1], v[0:1], v[2:3] neg_lo:[0,1] neg_hi:[0,1]
	v_pk_fma_f32 v[10:11], v[10:11], 0.5, v[126:127] op_sel_hi:[1,0,1] neg_lo:[1,0,0] neg_hi:[1,0,0]
	v_pk_mul_f32 v[0:1], v[0:1], s[4:5] op_sel_hi:[1,0]
	v_pk_add_f32 v[8:9], v[8:9], v[2:3]
	v_pk_add_f32 v[2:3], v[10:11], v[0:1] op_sel:[0,1] op_sel_hi:[1,0] neg_lo:[0,1] neg_hi:[0,1]
	v_pk_add_f32 v[0:1], v[10:11], v[0:1] op_sel:[0,1] op_sel_hi:[1,0]
	v_mov_b32_e32 v10, v2
	v_mov_b32_e32 v11, v1
	v_accvgpr_read_b32 v2, a44
	v_mov_b32_e32 v1, v3
	v_pk_mul_f32 v[6:7], v[6:7], v[116:117]
	ds_write2_b64 v2, v[8:9], v[10:11] offset1:4
	ds_write_b64 v2, v[0:1] offset:64
	v_pk_fma_f32 v[0:1], v[148:149], v[120:121], v[4:5] op_sel:[0,0,1] op_sel_hi:[1,1,0]
	v_pk_fma_f32 v[2:3], v[148:149], v[120:121], v[4:5] op_sel:[0,0,1] op_sel_hi:[1,1,0] neg_lo:[0,0,1] neg_hi:[0,0,1]
	v_pk_fma_f32 v[4:5], v[150:151], v[116:117], v[6:7] op_sel:[0,0,1] op_sel_hi:[1,1,0] neg_lo:[0,0,1] neg_hi:[0,0,1]
	v_mov_b32_e32 v1, v3
	v_pk_fma_f32 v[2:3], v[150:151], v[116:117], v[6:7] op_sel:[0,0,1] op_sel_hi:[1,1,0]
	v_pk_mul_f32 v[170:171], v[224:225], v[122:123]
	v_mov_b32_e32 v3, v5
	v_pk_add_f32 v[4:5], v[112:113], v[0:1]
	v_pk_add_f32 v[6:7], v[0:1], v[2:3]
	v_pk_add_f32 v[0:1], v[0:1], v[2:3] neg_lo:[0,1] neg_hi:[0,1]
	v_pk_fma_f32 v[6:7], v[6:7], 0.5, v[112:113] op_sel_hi:[1,0,1] neg_lo:[1,0,0] neg_hi:[1,0,0]
	v_pk_mul_f32 v[0:1], v[0:1], s[4:5] op_sel_hi:[1,0]
	v_pk_add_f32 v[4:5], v[4:5], v[2:3]
	v_pk_add_f32 v[2:3], v[6:7], v[0:1] op_sel:[0,1] op_sel_hi:[1,0] neg_lo:[0,1] neg_hi:[0,1]
	v_pk_add_f32 v[0:1], v[6:7], v[0:1] op_sel:[0,1] op_sel_hi:[1,0]
	v_mov_b32_e32 v6, v2
	v_mov_b32_e32 v7, v1
	v_accvgpr_read_b32 v2, a45
	v_mov_b32_e32 v1, v3
	v_pk_mul_f32 v[172:173], v[226:227], v[118:119]
	ds_write2_b64 v2, v[4:5], v[6:7] offset1:4
	ds_write_b64 v2, v[0:1] offset:64
	v_pk_fma_f32 v[0:1], v[212:213], v[122:123], v[170:171] op_sel:[0,0,1] op_sel_hi:[1,1,0]
	v_pk_fma_f32 v[2:3], v[212:213], v[122:123], v[170:171] op_sel:[0,0,1] op_sel_hi:[1,1,0] neg_lo:[0,0,1] neg_hi:[0,0,1]
	v_pk_fma_f32 v[4:5], v[208:209], v[118:119], v[172:173] op_sel:[0,0,1] op_sel_hi:[1,1,0] neg_lo:[0,0,1] neg_hi:[0,0,1]
	v_mov_b32_e32 v1, v3
	v_pk_fma_f32 v[2:3], v[208:209], v[118:119], v[172:173] op_sel:[0,0,1] op_sel_hi:[1,1,0]
	s_nop 0
	v_mov_b32_e32 v3, v5
	v_pk_add_f32 v[4:5], v[114:115], v[0:1]
	v_pk_add_f32 v[6:7], v[0:1], v[2:3]
	v_pk_add_f32 v[0:1], v[0:1], v[2:3] neg_lo:[0,1] neg_hi:[0,1]
	v_pk_fma_f32 v[6:7], v[6:7], 0.5, v[114:115] op_sel_hi:[1,0,1] neg_lo:[1,0,0] neg_hi:[1,0,0]
	v_pk_mul_f32 v[0:1], v[0:1], s[4:5] op_sel_hi:[1,0]
	v_pk_add_f32 v[4:5], v[4:5], v[2:3]
	v_pk_add_f32 v[2:3], v[6:7], v[0:1] op_sel:[0,1] op_sel_hi:[1,0] neg_lo:[0,1] neg_hi:[0,1]
	v_pk_add_f32 v[0:1], v[6:7], v[0:1] op_sel:[0,1] op_sel_hi:[1,0]
	v_mov_b32_e32 v6, v2
	v_mov_b32_e32 v7, v1
	v_accvgpr_read_b32 v2, a47
	v_mov_b32_e32 v1, v3
	ds_write2_b64 v2, v[4:5], v[6:7] offset1:4
	ds_write_b64 v2, v[0:1] offset:64
	s_and_saveexec_b64 s[4:5], vcc
	s_cbranch_execz .LBB0_19
; %bb.18:
	v_accvgpr_read_b32 v0, a51
	v_mul_u32_u24_e32 v0, 12, v0
	v_accvgpr_read_b32 v1, a23
	v_or_b32_e32 v0, v0, v1
	v_lshlrev_b32_e32 v2, 3, v0
	v_mov_b32_e32 v0, v200
	v_mov_b32_e32 v1, v199
	ds_write2_b64 v2, v[86:87], v[0:1] offset1:4
	v_mov_b32_e32 v0, v198
	v_mov_b32_e32 v1, v201
	ds_write_b64 v2, v[0:1] offset:64
.LBB0_19:
	s_or_b64 exec, exec, s[4:5]
	v_add_u32_e32 v0, 0x800, v152
	s_waitcnt lgkmcnt(0)
	; wave barrier
	s_waitcnt lgkmcnt(0)
	ds_read2_b64 v[128:131], v0 offset0:164 offset1:227
	v_add_u32_e32 v0, 0x1800, v152
	ds_read2_b64 v[120:123], v152 offset1:63
	ds_read2_b64 v[124:127], v0 offset0:72 offset1:135
	ds_read2_b64 v[12:15], v152 offset0:126 offset1:189
	v_add_u32_e32 v0, 0x1c00, v152
	v_add_u32_e32 v4, 0x1000, v152
	ds_read2_b64 v[112:115], v0 offset0:70 offset1:133
	v_add_u32_e32 v0, 0x400, v152
	ds_read2_b64 v[116:119], v4 offset0:34 offset1:97
	ds_read2_b64 v[0:3], v0 offset0:124 offset1:187
	ds_read2_b64 v[8:11], v4 offset0:160 offset1:223
	v_add_u32_e32 v4, 0x2000, v152
	ds_read2_b64 v[4:7], v4 offset0:68 offset1:131
	s_and_saveexec_b64 s[4:5], s[0:1]
	s_xor_b64 s[0:1], exec, s[4:5]
	s_or_saveexec_b64 s[0:1], s[0:1]
	v_mov_b32_e32 v228, v20
	v_mov_b32_e32 v229, v20
	;; [unrolled: 1-line block ×36, first 2 shown]
	s_xor_b64 exec, exec, s[0:1]
	s_cbranch_execz .LBB0_21
; %bb.20:
	ds_read_b64 v[132:133], v152 offset:9744
	ds_read_b64 v[200:201], v152 offset:6384
	;; [unrolled: 1-line block ×3, first 2 shown]
	s_waitcnt lgkmcnt(2)
	v_mov_b32_e32 v198, v132
	s_waitcnt lgkmcnt(1)
	v_mov_b32_e32 v199, v201
	v_mov_b32_e32 v201, v133
.LBB0_21:
	s_or_b64 exec, exec, s[0:1]
	s_waitcnt lgkmcnt(6)
	v_pk_mul_f32 v[158:159], v[22:23], v[124:125]
	v_pk_mul_f32 v[22:23], v[16:17], v[198:199] op_sel:[0,1]
	v_pk_mul_f32 v[154:155], v[20:21], v[128:129]
	s_waitcnt lgkmcnt(3)
	v_pk_mul_f32 v[160:161], v[40:41], v[118:119]
	v_pk_mul_f32 v[40:41], v[18:19], v[200:201] op_sel:[0,1]
	v_pk_fma_f32 v[20:21], v[16:17], v[200:201], v[22:23] op_sel:[0,0,1] op_sel_hi:[1,1,0]
	v_pk_fma_f32 v[16:17], v[16:17], v[200:201], v[22:23] op_sel:[0,0,1] op_sel_hi:[1,0,0] neg_lo:[1,0,0] neg_hi:[1,0,0]
	v_pk_fma_f32 v[162:163], v[228:229], v[128:129], v[154:155] op_sel:[0,0,1] op_sel_hi:[1,1,0]
	v_mov_b32_e32 v21, v17
	v_pk_fma_f32 v[16:17], v[18:19], v[198:199], v[40:41] op_sel:[0,0,1] op_sel_hi:[1,1,0]
	v_pk_fma_f32 v[18:19], v[18:19], v[198:199], v[40:41] op_sel:[0,0,1] op_sel_hi:[1,0,0] neg_lo:[1,0,0] neg_hi:[1,0,0]
	v_pk_fma_f32 v[128:129], v[228:229], v[128:129], v[154:155] op_sel:[0,0,1] op_sel_hi:[1,1,0] neg_lo:[0,0,1] neg_hi:[0,0,1]
	v_mov_b32_e32 v17, v19
	v_mov_b32_e32 v163, v129
	v_pk_fma_f32 v[128:129], v[226:227], v[124:125], v[158:159] op_sel:[0,0,1] op_sel_hi:[1,1,0]
	v_pk_fma_f32 v[124:125], v[226:227], v[124:125], v[158:159] op_sel:[0,0,1] op_sel_hi:[1,1,0] neg_lo:[0,0,1] neg_hi:[0,0,1]
	v_pk_add_f32 v[18:19], v[20:21], v[16:17]
	v_mov_b32_e32 v129, v125
	v_pk_add_f32 v[124:125], v[120:121], v[162:163]
	s_waitcnt lgkmcnt(0)
	v_pk_fma_f32 v[22:23], v[18:19], 0.5, v[86:87] op_sel_hi:[1,0,1] neg_lo:[1,0,0] neg_hi:[1,0,0]
	v_pk_add_f32 v[18:19], v[20:21], v[16:17] neg_lo:[0,1] neg_hi:[0,1]
	s_mov_b32 s0, 0x3f5db3d7
	v_pk_add_f32 v[124:125], v[124:125], v[128:129]
	v_pk_add_f32 v[154:155], v[162:163], v[128:129]
	v_pk_add_f32 v[128:129], v[162:163], v[128:129] neg_lo:[0,1] neg_hi:[0,1]
	v_pk_mul_f32 v[40:41], v[18:19], s[0:1] op_sel_hi:[1,0]
	v_pk_fma_f32 v[120:121], v[154:155], 0.5, v[120:121] op_sel_hi:[1,0,1] neg_lo:[1,0,0] neg_hi:[1,0,0]
	v_pk_mul_f32 v[128:129], v[128:129], s[0:1] op_sel_hi:[1,0]
	v_pk_add_f32 v[18:19], v[22:23], v[40:41] op_sel:[0,1] op_sel_hi:[1,0]
	v_pk_add_f32 v[154:155], v[120:121], v[128:129] op_sel:[0,1] op_sel_hi:[1,0] neg_lo:[0,1] neg_hi:[0,1]
	v_pk_add_f32 v[120:121], v[120:121], v[128:129] op_sel:[0,1] op_sel_hi:[1,0]
	v_pk_mul_f32 v[24:25], v[24:25], v[130:131]
	v_pk_add_f32 v[22:23], v[22:23], v[40:41] op_sel:[0,1] op_sel_hi:[1,0] neg_lo:[0,1] neg_hi:[0,1]
	v_mov_b32_e32 v40, v18
	v_mov_b32_e32 v129, v121
	v_accvgpr_read_b32 v18, a42
	v_mov_b32_e32 v121, v155
	v_pk_mul_f32 v[26:27], v[26:27], v[126:127]
	s_waitcnt lgkmcnt(0)
	; wave barrier
	ds_write_b64 v18, v[120:121] offset:192
	v_pk_fma_f32 v[120:121], v[224:225], v[130:131], v[24:25] op_sel:[0,0,1] op_sel_hi:[1,1,0]
	v_pk_fma_f32 v[24:25], v[224:225], v[130:131], v[24:25] op_sel:[0,0,1] op_sel_hi:[1,1,0] neg_lo:[0,0,1] neg_hi:[0,0,1]
	v_mov_b32_e32 v128, v154
	v_mov_b32_e32 v121, v25
	v_pk_fma_f32 v[24:25], v[222:223], v[126:127], v[26:27] op_sel:[0,0,1] op_sel_hi:[1,1,0]
	v_pk_fma_f32 v[26:27], v[222:223], v[126:127], v[26:27] op_sel:[0,0,1] op_sel_hi:[1,1,0] neg_lo:[0,0,1] neg_hi:[0,0,1]
	ds_write2_b64 v18, v[124:125], v[128:129] offset1:12
	v_mov_b32_e32 v25, v27
	v_pk_add_f32 v[26:27], v[122:123], v[120:121]
	v_pk_add_f32 v[124:125], v[120:121], v[24:25]
	;; [unrolled: 1-line block ×3, first 2 shown]
	v_pk_add_f32 v[24:25], v[120:121], v[24:25] neg_lo:[0,1] neg_hi:[0,1]
	v_pk_fma_f32 v[122:123], v[124:125], 0.5, v[122:123] op_sel_hi:[1,0,1] neg_lo:[1,0,0] neg_hi:[1,0,0]
	v_pk_mul_f32 v[24:25], v[24:25], s[0:1] op_sel_hi:[1,0]
	v_pk_mul_f32 v[28:29], v[28:29], v[116:117]
	v_pk_add_f32 v[120:121], v[122:123], v[24:25] op_sel:[0,1] op_sel_hi:[1,0] neg_lo:[0,1] neg_hi:[0,1]
	v_pk_add_f32 v[24:25], v[122:123], v[24:25] op_sel:[0,1] op_sel_hi:[1,0]
	v_mov_b32_e32 v122, v120
	v_mov_b32_e32 v123, v25
	v_accvgpr_read_b32 v18, a46
	v_mov_b32_e32 v25, v121
	v_pk_mul_f32 v[30:31], v[30:31], v[112:113]
	ds_write2_b64 v18, v[26:27], v[122:123] offset1:12
	ds_write_b64 v18, v[24:25] offset:192
	v_pk_fma_f32 v[24:25], v[220:221], v[116:117], v[28:29] op_sel:[0,0,1] op_sel_hi:[1,1,0]
	v_pk_fma_f32 v[26:27], v[220:221], v[116:117], v[28:29] op_sel:[0,0,1] op_sel_hi:[1,1,0] neg_lo:[0,0,1] neg_hi:[0,0,1]
	v_pk_fma_f32 v[28:29], v[218:219], v[112:113], v[30:31] op_sel:[0,0,1] op_sel_hi:[1,1,0] neg_lo:[0,0,1] neg_hi:[0,0,1]
	v_mov_b32_e32 v25, v27
	v_pk_fma_f32 v[26:27], v[218:219], v[112:113], v[30:31] op_sel:[0,0,1] op_sel_hi:[1,1,0]
	v_accvgpr_read_b32 v18, a48
	v_mov_b32_e32 v27, v29
	v_pk_add_f32 v[28:29], v[12:13], v[24:25]
	v_pk_add_f32 v[30:31], v[24:25], v[26:27]
	v_pk_add_f32 v[24:25], v[24:25], v[26:27] neg_lo:[0,1] neg_hi:[0,1]
	v_pk_fma_f32 v[12:13], v[30:31], 0.5, v[12:13] op_sel_hi:[1,0,1] neg_lo:[1,0,0] neg_hi:[1,0,0]
	v_pk_mul_f32 v[24:25], v[24:25], s[0:1] op_sel_hi:[1,0]
	v_pk_add_f32 v[28:29], v[28:29], v[26:27]
	v_pk_add_f32 v[26:27], v[12:13], v[24:25] op_sel:[0,1] op_sel_hi:[1,0] neg_lo:[0,1] neg_hi:[0,1]
	v_pk_add_f32 v[12:13], v[12:13], v[24:25] op_sel:[0,1] op_sel_hi:[1,0]
	v_mov_b32_e32 v24, v26
	v_mov_b32_e32 v25, v13
	;; [unrolled: 1-line block ×3, first 2 shown]
	v_pk_mul_f32 v[42:43], v[42:43], v[114:115]
	ds_write2_b64 v18, v[28:29], v[24:25] offset1:12
	ds_write_b64 v18, v[12:13] offset:192
	v_pk_fma_f32 v[12:13], v[216:217], v[118:119], v[160:161] op_sel:[0,0,1] op_sel_hi:[1,1,0]
	v_pk_fma_f32 v[24:25], v[216:217], v[118:119], v[160:161] op_sel:[0,0,1] op_sel_hi:[1,1,0] neg_lo:[0,0,1] neg_hi:[0,0,1]
	v_pk_fma_f32 v[26:27], v[214:215], v[114:115], v[42:43] op_sel:[0,0,1] op_sel_hi:[1,1,0] neg_lo:[0,0,1] neg_hi:[0,0,1]
	v_mov_b32_e32 v13, v25
	v_pk_fma_f32 v[24:25], v[214:215], v[114:115], v[42:43] op_sel:[0,0,1] op_sel_hi:[1,1,0]
	v_pk_mul_f32 v[36:37], v[36:37], v[8:9]
	v_mov_b32_e32 v25, v27
	v_pk_add_f32 v[26:27], v[14:15], v[12:13]
	v_pk_add_f32 v[28:29], v[12:13], v[24:25]
	v_pk_add_f32 v[12:13], v[12:13], v[24:25] neg_lo:[0,1] neg_hi:[0,1]
	v_pk_fma_f32 v[14:15], v[28:29], 0.5, v[14:15] op_sel_hi:[1,0,1] neg_lo:[1,0,0] neg_hi:[1,0,0]
	v_pk_mul_f32 v[12:13], v[12:13], s[0:1] op_sel_hi:[1,0]
	v_pk_add_f32 v[26:27], v[26:27], v[24:25]
	v_pk_add_f32 v[24:25], v[14:15], v[12:13] op_sel:[0,1] op_sel_hi:[1,0] neg_lo:[0,1] neg_hi:[0,1]
	v_pk_add_f32 v[12:13], v[14:15], v[12:13] op_sel:[0,1] op_sel_hi:[1,0]
	v_accvgpr_read_b32 v18, a49
	v_mov_b32_e32 v15, v13
	v_mov_b32_e32 v13, v25
	v_pk_mul_f32 v[38:39], v[38:39], v[4:5]
	ds_write_b64 v18, v[12:13] offset:192
	v_pk_fma_f32 v[12:13], v[212:213], v[8:9], v[36:37] op_sel:[0,0,1] op_sel_hi:[1,1,0]
	v_pk_fma_f32 v[8:9], v[212:213], v[8:9], v[36:37] op_sel:[0,0,1] op_sel_hi:[1,1,0] neg_lo:[0,0,1] neg_hi:[0,0,1]
	v_mov_b32_e32 v14, v24
	v_mov_b32_e32 v13, v9
	v_pk_fma_f32 v[8:9], v[210:211], v[4:5], v[38:39] op_sel:[0,0,1] op_sel_hi:[1,1,0]
	v_pk_fma_f32 v[4:5], v[210:211], v[4:5], v[38:39] op_sel:[0,0,1] op_sel_hi:[1,1,0] neg_lo:[0,0,1] neg_hi:[0,0,1]
	ds_write2_b64 v18, v[26:27], v[14:15] offset1:12
	v_mov_b32_e32 v9, v5
	v_pk_add_f32 v[4:5], v[12:13], v[8:9]
	v_pk_add_f32 v[14:15], v[12:13], v[8:9] neg_lo:[0,1] neg_hi:[0,1]
	v_pk_fma_f32 v[4:5], v[4:5], 0.5, v[0:1] op_sel_hi:[1,0,1] neg_lo:[1,0,0] neg_hi:[1,0,0]
	v_pk_mul_f32 v[14:15], v[14:15], s[0:1] op_sel_hi:[1,0]
	v_pk_add_f32 v[0:1], v[0:1], v[12:13]
	v_pk_add_f32 v[24:25], v[4:5], v[14:15] op_sel:[0,1] op_sel_hi:[1,0]
	v_pk_add_f32 v[4:5], v[4:5], v[14:15] op_sel:[0,1] op_sel_hi:[1,0] neg_lo:[0,1] neg_hi:[0,1]
	v_pk_mul_f32 v[32:33], v[32:33], v[10:11]
	v_pk_add_f32 v[0:1], v[0:1], v[8:9]
	v_mov_b32_e32 v8, v4
	v_mov_b32_e32 v9, v25
	v_accvgpr_read_b32 v4, a50
	v_mov_b32_e32 v25, v5
	v_pk_mul_f32 v[34:35], v[34:35], v[6:7]
	ds_write2_b64 v4, v[0:1], v[8:9] offset1:12
	ds_write_b64 v4, v[24:25] offset:192
	v_pk_fma_f32 v[0:1], v[208:209], v[10:11], v[32:33] op_sel:[0,0,1] op_sel_hi:[1,1,0]
	v_pk_fma_f32 v[4:5], v[208:209], v[10:11], v[32:33] op_sel:[0,0,1] op_sel_hi:[1,1,0] neg_lo:[0,0,1] neg_hi:[0,0,1]
	v_mov_b32_e32 v204, v76
	v_mov_b32_e32 v1, v5
	v_pk_fma_f32 v[4:5], v[206:207], v[6:7], v[34:35] op_sel:[0,0,1] op_sel_hi:[1,1,0]
	v_pk_fma_f32 v[6:7], v[206:207], v[6:7], v[34:35] op_sel:[0,0,1] op_sel_hi:[1,1,0] neg_lo:[0,0,1] neg_hi:[0,0,1]
	v_mov_b32_e32 v205, v76
	v_mov_b32_e32 v5, v7
	v_pk_add_f32 v[6:7], v[0:1], v[4:5]
	v_pk_add_f32 v[8:9], v[0:1], v[4:5] neg_lo:[0,1] neg_hi:[0,1]
	v_pk_fma_f32 v[6:7], v[6:7], 0.5, v[2:3] op_sel_hi:[1,0,1] neg_lo:[1,0,0] neg_hi:[1,0,0]
	v_pk_mul_f32 v[8:9], v[8:9], s[0:1] op_sel_hi:[1,0]
	v_pk_add_f32 v[0:1], v[2:3], v[0:1]
	v_pk_add_f32 v[10:11], v[6:7], v[8:9] op_sel:[0,1] op_sel_hi:[1,0]
	v_pk_add_f32 v[6:7], v[6:7], v[8:9] op_sel:[0,1] op_sel_hi:[1,0] neg_lo:[0,1] neg_hi:[0,1]
	v_mov_b32_e32 v76, v77
	v_mov_b32_e32 v202, v78
	;; [unrolled: 1-line block ×35, first 2 shown]
	v_pk_add_f32 v[0:1], v[0:1], v[4:5]
	v_mov_b32_e32 v2, v6
	v_mov_b32_e32 v3, v11
	v_accvgpr_read_b32 v4, a52
	v_mov_b32_e32 v11, v7
	ds_write2_b64 v4, v[0:1], v[2:3] offset1:12
	ds_write_b64 v4, v[10:11] offset:192
	s_and_saveexec_b64 s[0:1], vcc
	s_cbranch_execz .LBB0_23
; %bb.22:
	v_accvgpr_read_b32 v0, a53
	v_lshlrev_b32_e32 v2, 3, v0
	v_pk_add_f32 v[0:1], v[20:21], v[86:87]
	v_mov_b32_e32 v23, v19
	v_pk_add_f32 v[0:1], v[0:1], v[16:17]
	ds_write2_b64 v2, v[0:1], v[22:23] offset1:12
	ds_write_b64 v2, v[40:41] offset:192
.LBB0_23:
	s_or_b64 exec, exec, s[0:1]
	v_add_u32_e32 v112, 0x800, v152
	s_waitcnt lgkmcnt(0)
	; wave barrier
	s_waitcnt lgkmcnt(0)
	ds_read2_b64 v[0:3], v112 offset0:122 offset1:185
	v_add_u32_e32 v113, 0x1000, v152
	ds_read2_b64 v[4:7], v113 offset0:118 offset1:181
	v_add_u32_e32 v114, 0x1800, v152
	ds_read2_b64 v[8:11], v114 offset0:114 offset1:177
	s_waitcnt lgkmcnt(2)
	v_pk_mul_f32 v[20:21], v[76:77], v[0:1]
	v_add_u32_e32 v115, 0x2000, v152
	v_pk_fma_f32 v[34:35], v[204:205], v[0:1], v[20:21] op_sel:[0,0,1] op_sel_hi:[1,1,0]
	v_pk_fma_f32 v[0:1], v[204:205], v[0:1], v[20:21] op_sel:[0,0,1] op_sel_hi:[1,1,0] neg_lo:[0,0,1] neg_hi:[0,0,1]
	ds_read2_b64 v[12:15], v115 offset0:110 offset1:173
	ds_read2_b64 v[16:19], v152 offset0:126 offset1:189
	v_mov_b32_e32 v35, v1
	s_waitcnt lgkmcnt(3)
	v_pk_mul_f32 v[0:1], v[78:79], v[4:5]
	s_mov_b32 s0, 0x3f737871
	v_pk_fma_f32 v[36:37], v[202:203], v[4:5], v[0:1] op_sel:[0,0,1] op_sel_hi:[1,1,0]
	v_pk_fma_f32 v[0:1], v[202:203], v[4:5], v[0:1] op_sel:[0,0,1] op_sel_hi:[1,1,0] neg_lo:[0,0,1] neg_hi:[0,0,1]
	s_mov_b32 s12, 0x3f167918
	v_mov_b32_e32 v37, v1
	s_waitcnt lgkmcnt(2)
	v_pk_mul_f32 v[0:1], v[64:65], v[8:9]
	v_pk_add_f32 v[4:5], v[34:35], v[36:37] neg_lo:[0,1] neg_hi:[0,1]
	v_pk_fma_f32 v[38:39], v[150:151], v[8:9], v[0:1] op_sel:[0,0,1] op_sel_hi:[1,1,0]
	v_pk_fma_f32 v[0:1], v[150:151], v[8:9], v[0:1] op_sel:[0,0,1] op_sel_hi:[1,1,0] neg_lo:[0,0,1] neg_hi:[0,0,1]
	s_mov_b32 s4, 0x3e9e377a
	v_mov_b32_e32 v39, v1
	s_waitcnt lgkmcnt(1)
	v_pk_mul_f32 v[0:1], v[66:67], v[12:13]
	v_pk_add_f32 v[66:67], v[36:37], v[38:39] neg_lo:[0,1] neg_hi:[0,1]
	v_pk_fma_f32 v[42:43], v[148:149], v[12:13], v[0:1] op_sel:[0,0,1] op_sel_hi:[1,1,0]
	v_pk_fma_f32 v[0:1], v[148:149], v[12:13], v[0:1] op_sel:[0,0,1] op_sel_hi:[1,1,0] neg_lo:[0,0,1] neg_hi:[0,0,1]
	v_add_u32_e32 v30, 0x1c00, v152
	v_mov_b32_e32 v43, v1
	v_pk_add_f32 v[0:1], v[36:37], v[38:39]
	v_pk_add_f32 v[64:65], v[34:35], v[42:43] neg_lo:[0,1] neg_hi:[0,1]
	s_waitcnt lgkmcnt(0)
	v_pk_fma_f32 v[0:1], v[0:1], 0.5, v[16:17] op_sel_hi:[1,0,1] neg_lo:[1,0,0] neg_hi:[1,0,0]
	v_pk_add_f32 v[8:9], v[42:43], v[38:39] neg_lo:[0,1] neg_hi:[0,1]
	ds_read2_b64 v[30:33], v30 offset0:112 offset1:175
	v_pk_add_f32 v[76:77], v[4:5], v[8:9]
	v_pk_fma_f32 v[4:5], v[64:65], s[0:1], v[0:1] op_sel:[1,0,0] op_sel_hi:[0,0,1]
	v_pk_fma_f32 v[86:87], v[66:67], s[12:13], v[4:5] op_sel:[1,0,0] op_sel_hi:[0,0,1]
	v_pk_mul_f32 v[4:5], v[48:49], v[2:3] op_sel:[0,1]
	v_pk_fma_f32 v[0:1], v[64:65], s[0:1], v[0:1] op_sel:[1,0,0] op_sel_hi:[0,0,1] neg_lo:[1,0,0] neg_hi:[1,0,0]
	v_pk_fma_f32 v[8:9], v[48:49], v[2:3], v[4:5] op_sel:[0,0,1] op_sel_hi:[1,0,0] neg_lo:[1,0,0] neg_hi:[1,0,0]
	v_pk_fma_f32 v[4:5], v[48:49], v[2:3], v[4:5] op_sel:[0,0,1] op_sel_hi:[1,0,0]
	v_pk_mul_f32 v[2:3], v[50:51], v[6:7] op_sel:[0,1]
	v_mov_b32_e32 v5, v9
	v_pk_fma_f32 v[8:9], v[50:51], v[6:7], v[2:3] op_sel:[0,0,1] op_sel_hi:[1,0,0] neg_lo:[1,0,0] neg_hi:[1,0,0]
	v_pk_fma_f32 v[6:7], v[50:51], v[6:7], v[2:3] op_sel:[0,0,1] op_sel_hi:[1,0,0]
	v_pk_mul_f32 v[2:3], v[44:45], v[10:11] op_sel:[0,1]
	v_mov_b32_e32 v7, v9
	;; [unrolled: 4-line block ×3, first 2 shown]
	v_pk_fma_f32 v[8:9], v[46:47], v[14:15], v[2:3] op_sel:[0,0,1] op_sel_hi:[1,0,0] neg_lo:[1,0,0] neg_hi:[1,0,0]
	v_pk_fma_f32 v[12:13], v[46:47], v[14:15], v[2:3] op_sel:[0,0,1] op_sel_hi:[1,0,0]
	v_pk_add_f32 v[24:25], v[6:7], v[10:11]
	v_mov_b32_e32 v13, v9
	v_pk_add_f32 v[2:3], v[4:5], v[12:13]
	v_pk_add_f32 v[22:23], v[10:11], v[12:13] neg_lo:[0,1] neg_hi:[0,1]
	v_pk_fma_f32 v[20:21], v[2:3], 0.5, v[18:19] op_sel_hi:[1,0,1] neg_lo:[1,0,0] neg_hi:[1,0,0]
	v_pk_add_f32 v[2:3], v[6:7], v[4:5] neg_lo:[0,1] neg_hi:[0,1]
	v_pk_add_f32 v[8:9], v[4:5], v[12:13] neg_lo:[0,1] neg_hi:[0,1]
	v_pk_add_f32 v[22:23], v[2:3], v[22:23]
	v_pk_add_f32 v[2:3], v[18:19], v[4:5]
	v_pk_add_f32 v[14:15], v[6:7], v[10:11] neg_lo:[0,1] neg_hi:[0,1]
	v_pk_add_f32 v[2:3], v[2:3], v[6:7]
	v_pk_fma_f32 v[18:19], v[24:25], 0.5, v[18:19] op_sel_hi:[1,0,1] neg_lo:[1,0,0] neg_hi:[1,0,0]
	v_pk_add_f32 v[4:5], v[4:5], v[6:7] neg_lo:[0,1] neg_hi:[0,1]
	v_pk_add_f32 v[6:7], v[12:13], v[10:11] neg_lo:[0,1] neg_hi:[0,1]
	v_pk_add_f32 v[2:3], v[2:3], v[10:11]
	v_pk_add_f32 v[6:7], v[4:5], v[6:7]
	v_pk_fma_f32 v[4:5], v[8:9], s[0:1], v[18:19] op_sel:[1,0,0] op_sel_hi:[0,0,1] neg_lo:[1,0,0] neg_hi:[1,0,0]
	v_pk_fma_f32 v[10:11], v[8:9], s[0:1], v[18:19] op_sel:[1,0,0] op_sel_hi:[0,0,1]
	v_pk_add_f32 v[2:3], v[2:3], v[12:13]
	v_pk_fma_f32 v[10:11], v[14:15], s[12:13], v[10:11] op_sel:[1,0,0] op_sel_hi:[0,0,1]
	v_pk_fma_f32 v[12:13], v[14:15], s[12:13], v[4:5] op_sel:[1,0,0] op_sel_hi:[0,0,1] neg_lo:[1,0,0] neg_hi:[1,0,0]
	v_mov_b32_e32 v4, v12
	v_mov_b32_e32 v5, v11
	;; [unrolled: 1-line block ×3, first 2 shown]
	v_pk_fma_f32 v[4:5], v[6:7], s[4:5], v[4:5] op_sel_hi:[1,0,1]
	v_pk_fma_f32 v[10:11], v[6:7], s[4:5], v[10:11] op_sel_hi:[1,0,1]
	v_pk_fma_f32 v[6:7], v[14:15], s[0:1], v[20:21] op_sel:[1,0,0] op_sel_hi:[0,0,1] neg_lo:[1,0,0] neg_hi:[1,0,0]
	v_pk_fma_f32 v[12:13], v[14:15], s[0:1], v[20:21] op_sel:[1,0,0] op_sel_hi:[0,0,1]
	v_pk_fma_f32 v[14:15], v[8:9], s[12:13], v[6:7] op_sel:[1,0,0] op_sel_hi:[0,0,1]
	v_pk_fma_f32 v[8:9], v[8:9], s[12:13], v[12:13] op_sel:[1,0,0] op_sel_hi:[0,0,1] neg_lo:[1,0,0] neg_hi:[1,0,0]
	v_add_u32_e32 v18, 0x400, v152
	v_mov_b32_e32 v6, v8
	v_mov_b32_e32 v7, v15
	;; [unrolled: 1-line block ×3, first 2 shown]
	ds_read2_b64 v[18:21], v18 offset0:124 offset1:187
	v_pk_fma_f32 v[6:7], v[22:23], s[4:5], v[6:7] op_sel_hi:[1,0,1]
	v_pk_fma_f32 v[8:9], v[22:23], s[4:5], v[14:15] op_sel_hi:[1,0,1]
	v_add_u32_e32 v22, 0xc00, v152
	ds_read2_b64 v[22:25], v22 offset0:120 offset1:183
	v_pk_fma_f32 v[78:79], v[66:67], s[12:13], v[0:1] op_sel:[1,0,0] op_sel_hi:[0,0,1] neg_lo:[1,0,0] neg_hi:[1,0,0]
	v_mov_b32_e32 v0, v86
	v_add_u32_e32 v86, 0x1400, v152
	ds_read2_b64 v[26:29], v86 offset0:116 offset1:179
	s_waitcnt lgkmcnt(2)
	v_pk_mul_f32 v[44:45], v[80:81], v[20:21]
	ds_read2_b64 v[12:15], v152 offset1:63
	v_pk_fma_f32 v[46:47], v[146:147], v[20:21], v[44:45] op_sel:[0,0,1] op_sel_hi:[1,1,0]
	v_pk_fma_f32 v[20:21], v[146:147], v[20:21], v[44:45] op_sel:[0,0,1] op_sel_hi:[1,1,0] neg_lo:[0,0,1] neg_hi:[0,0,1]
	s_waitcnt lgkmcnt(0)
	v_mov_b32_e32 v47, v21
	v_pk_mul_f32 v[20:21], v[82:83], v[24:25]
	; wave barrier
	s_nop 0
	v_pk_fma_f32 v[44:45], v[144:145], v[24:25], v[20:21] op_sel:[0,0,1] op_sel_hi:[1,1,0]
	v_pk_fma_f32 v[20:21], v[144:145], v[24:25], v[20:21] op_sel:[0,0,1] op_sel_hi:[1,1,0] neg_lo:[0,0,1] neg_hi:[0,0,1]
	v_mov_b32_e32 v1, v79
	v_mov_b32_e32 v45, v21
	v_pk_mul_f32 v[20:21], v[72:73], v[28:29]
	v_mov_b32_e32 v79, v87
	v_pk_fma_f32 v[24:25], v[142:143], v[28:29], v[20:21] op_sel:[0,0,1] op_sel_hi:[1,1,0]
	v_pk_fma_f32 v[20:21], v[142:143], v[28:29], v[20:21] op_sel:[0,0,1] op_sel_hi:[1,1,0] neg_lo:[0,0,1] neg_hi:[0,0,1]
	v_pk_fma_f32 v[0:1], v[76:77], s[4:5], v[0:1] op_sel_hi:[1,0,1]
	v_mov_b32_e32 v25, v21
	v_pk_mul_f32 v[20:21], v[74:75], v[32:33]
	s_nop 0
	v_pk_fma_f32 v[28:29], v[140:141], v[32:33], v[20:21] op_sel:[0,0,1] op_sel_hi:[1,1,0]
	v_pk_fma_f32 v[20:21], v[140:141], v[32:33], v[20:21] op_sel:[0,0,1] op_sel_hi:[1,1,0] neg_lo:[0,0,1] neg_hi:[0,0,1]
	v_pk_mul_f32 v[32:33], v[56:57], v[18:19]
	v_mov_b32_e32 v29, v21
	v_pk_fma_f32 v[48:49], v[138:139], v[18:19], v[32:33] op_sel:[0,0,1] op_sel_hi:[1,1,0]
	v_pk_fma_f32 v[18:19], v[138:139], v[18:19], v[32:33] op_sel:[0,0,1] op_sel_hi:[1,1,0] neg_lo:[0,0,1] neg_hi:[0,0,1]
	v_pk_add_f32 v[20:21], v[14:15], v[46:47]
	v_mov_b32_e32 v49, v19
	v_pk_mul_f32 v[18:19], v[58:59], v[22:23]
	v_pk_add_f32 v[20:21], v[20:21], v[44:45]
	v_pk_fma_f32 v[32:33], v[136:137], v[22:23], v[18:19] op_sel:[0,0,1] op_sel_hi:[1,1,0]
	v_pk_fma_f32 v[18:19], v[136:137], v[22:23], v[18:19] op_sel:[0,0,1] op_sel_hi:[1,1,0] neg_lo:[0,0,1] neg_hi:[0,0,1]
	v_pk_add_f32 v[20:21], v[20:21], v[24:25]
	v_mov_b32_e32 v33, v19
	v_pk_mul_f32 v[18:19], v[52:53], v[26:27]
	v_pk_add_f32 v[58:59], v[48:49], v[32:33] neg_lo:[0,1] neg_hi:[0,1]
	v_pk_fma_f32 v[22:23], v[134:135], v[26:27], v[18:19] op_sel:[0,0,1] op_sel_hi:[1,1,0]
	v_pk_fma_f32 v[18:19], v[134:135], v[26:27], v[18:19] op_sel:[0,0,1] op_sel_hi:[1,1,0] neg_lo:[0,0,1] neg_hi:[0,0,1]
	v_pk_add_f32 v[20:21], v[20:21], v[28:29]
	v_mov_b32_e32 v23, v19
	v_pk_mul_f32 v[18:19], v[54:55], v[30:31]
	v_pk_add_f32 v[54:55], v[32:33], v[22:23] neg_lo:[0,1] neg_hi:[0,1]
	v_pk_fma_f32 v[26:27], v[132:133], v[30:31], v[18:19] op_sel:[0,0,1] op_sel_hi:[1,1,0]
	v_pk_fma_f32 v[18:19], v[132:133], v[30:31], v[18:19] op_sel:[0,0,1] op_sel_hi:[1,1,0] neg_lo:[0,0,1] neg_hi:[0,0,1]
	v_pk_add_f32 v[30:31], v[32:33], v[22:23]
	v_mov_b32_e32 v27, v19
	v_pk_add_f32 v[50:51], v[48:49], v[26:27] neg_lo:[0,1] neg_hi:[0,1]
	v_pk_fma_f32 v[30:31], v[30:31], 0.5, v[12:13] op_sel_hi:[1,0,1] neg_lo:[1,0,0] neg_hi:[1,0,0]
	v_pk_mul_f32 v[52:53], v[50:51], s[0:1] op_sel_hi:[1,0]
	v_pk_add_f32 v[72:73], v[26:27], v[22:23] neg_lo:[0,1] neg_hi:[0,1]
	v_pk_add_f32 v[18:19], v[12:13], v[48:49]
	v_pk_mul_f32 v[56:57], v[54:55], s[12:13] op_sel_hi:[1,0]
	v_pk_add_f32 v[58:59], v[58:59], v[72:73]
	v_pk_add_f32 v[72:73], v[30:31], v[52:53] op_sel:[0,1] op_sel_hi:[1,0] neg_lo:[0,1] neg_hi:[0,1]
	v_pk_add_f32 v[30:31], v[30:31], v[52:53] op_sel:[0,1] op_sel_hi:[1,0]
	v_pk_add_f32 v[18:19], v[18:19], v[32:33]
	v_pk_add_f32 v[30:31], v[30:31], v[56:57] op_sel:[0,1] op_sel_hi:[1,0]
	v_pk_add_f32 v[52:53], v[72:73], v[56:57] op_sel:[0,1] op_sel_hi:[1,0] neg_lo:[0,1] neg_hi:[0,1]
	v_pk_add_f32 v[18:19], v[18:19], v[22:23]
	v_mov_b32_e32 v56, v52
	v_mov_b32_e32 v57, v31
	v_pk_add_f32 v[18:19], v[18:19], v[26:27]
	v_pk_fma_f32 v[56:57], v[58:59], s[4:5], v[56:57] op_sel_hi:[1,0,1]
	ds_write2_b64 v165, v[18:19], v[56:57] offset1:36
	v_pk_add_f32 v[18:19], v[48:49], v[26:27]
	v_pk_add_f32 v[22:23], v[22:23], v[26:27] neg_lo:[0,1] neg_hi:[0,1]
	v_pk_fma_f32 v[12:13], v[18:19], 0.5, v[12:13] op_sel_hi:[1,0,1] neg_lo:[1,0,0] neg_hi:[1,0,0]
	v_pk_add_f32 v[18:19], v[32:33], v[48:49] neg_lo:[0,1] neg_hi:[0,1]
	v_pk_mul_f32 v[26:27], v[50:51], s[12:13] op_sel_hi:[1,0]
	v_pk_add_f32 v[18:19], v[18:19], v[22:23]
	v_pk_mul_f32 v[22:23], v[54:55], s[0:1] op_sel_hi:[1,0]
	v_mov_b32_e32 v31, v53
	v_pk_add_f32 v[32:33], v[12:13], v[22:23] op_sel:[0,1] op_sel_hi:[1,0]
	v_pk_add_f32 v[12:13], v[12:13], v[22:23] op_sel:[0,1] op_sel_hi:[1,0] neg_lo:[0,1] neg_hi:[0,1]
	v_pk_add_f32 v[22:23], v[32:33], v[26:27] op_sel:[0,1] op_sel_hi:[1,0] neg_lo:[0,1] neg_hi:[0,1]
	v_pk_add_f32 v[12:13], v[12:13], v[26:27] op_sel:[0,1] op_sel_hi:[1,0]
	v_mov_b32_e32 v26, v22
	v_mov_b32_e32 v27, v13
	;; [unrolled: 1-line block ×3, first 2 shown]
	v_pk_fma_f32 v[26:27], v[18:19], s[4:5], v[26:27] op_sel_hi:[1,0,1]
	v_pk_fma_f32 v[12:13], v[18:19], s[4:5], v[12:13] op_sel_hi:[1,0,1]
	ds_write2_b64 v165, v[26:27], v[12:13] offset0:72 offset1:108
	v_pk_fma_f32 v[12:13], v[58:59], s[4:5], v[30:31] op_sel_hi:[1,0,1]
	ds_write_b64 v165, v[12:13] offset:1152
	v_pk_add_f32 v[12:13], v[44:45], v[24:25]
	v_pk_add_f32 v[18:19], v[46:47], v[28:29] neg_lo:[0,1] neg_hi:[0,1]
	v_pk_fma_f32 v[12:13], v[12:13], 0.5, v[14:15] op_sel_hi:[1,0,1] neg_lo:[1,0,0] neg_hi:[1,0,0]
	v_pk_mul_f32 v[22:23], v[18:19], s[0:1] op_sel_hi:[1,0]
	v_pk_add_f32 v[26:27], v[44:45], v[24:25] neg_lo:[0,1] neg_hi:[0,1]
	v_pk_add_f32 v[32:33], v[46:47], v[44:45] neg_lo:[0,1] neg_hi:[0,1]
	;; [unrolled: 1-line block ×3, first 2 shown]
	v_pk_mul_f32 v[30:31], v[26:27], s[12:13] op_sel_hi:[1,0]
	v_pk_add_f32 v[32:33], v[32:33], v[48:49]
	v_pk_add_f32 v[48:49], v[12:13], v[22:23] op_sel:[0,1] op_sel_hi:[1,0] neg_lo:[0,1] neg_hi:[0,1]
	v_pk_add_f32 v[12:13], v[12:13], v[22:23] op_sel:[0,1] op_sel_hi:[1,0]
	v_pk_add_f32 v[22:23], v[48:49], v[30:31] op_sel:[0,1] op_sel_hi:[1,0] neg_lo:[0,1] neg_hi:[0,1]
	v_pk_add_f32 v[12:13], v[12:13], v[30:31] op_sel:[0,1] op_sel_hi:[1,0]
	v_mov_b32_e32 v30, v22
	v_mov_b32_e32 v31, v13
	v_pk_fma_f32 v[30:31], v[32:33], s[4:5], v[30:31] op_sel_hi:[1,0,1]
	v_accvgpr_read_b32 v22, a54
	ds_write2_b64 v22, v[20:21], v[30:31] offset1:36
	v_pk_add_f32 v[20:21], v[46:47], v[28:29]
	v_pk_add_f32 v[24:25], v[24:25], v[28:29] neg_lo:[0,1] neg_hi:[0,1]
	v_pk_fma_f32 v[14:15], v[20:21], 0.5, v[14:15] op_sel_hi:[1,0,1] neg_lo:[1,0,0] neg_hi:[1,0,0]
	v_pk_add_f32 v[20:21], v[44:45], v[46:47] neg_lo:[0,1] neg_hi:[0,1]
	v_mov_b32_e32 v13, v23
	v_pk_add_f32 v[20:21], v[20:21], v[24:25]
	v_pk_mul_f32 v[24:25], v[26:27], s[0:1] op_sel_hi:[1,0]
	v_pk_mul_f32 v[18:19], v[18:19], s[12:13] op_sel_hi:[1,0]
	v_pk_add_f32 v[26:27], v[14:15], v[24:25] op_sel:[0,1] op_sel_hi:[1,0]
	v_pk_add_f32 v[14:15], v[14:15], v[24:25] op_sel:[0,1] op_sel_hi:[1,0] neg_lo:[0,1] neg_hi:[0,1]
	v_pk_fma_f32 v[12:13], v[32:33], s[4:5], v[12:13] op_sel_hi:[1,0,1]
	v_pk_add_f32 v[14:15], v[14:15], v[18:19] op_sel:[0,1] op_sel_hi:[1,0]
	v_pk_add_f32 v[18:19], v[26:27], v[18:19] op_sel:[0,1] op_sel_hi:[1,0] neg_lo:[0,1] neg_hi:[0,1]
	ds_write_b64 v22, v[12:13] offset:1152
	v_pk_add_f32 v[12:13], v[16:17], v[34:35]
	v_mov_b32_e32 v24, v18
	v_mov_b32_e32 v25, v15
	;; [unrolled: 1-line block ×3, first 2 shown]
	v_pk_add_f32 v[12:13], v[12:13], v[36:37]
	v_pk_fma_f32 v[24:25], v[20:21], s[4:5], v[24:25] op_sel_hi:[1,0,1]
	v_pk_fma_f32 v[14:15], v[20:21], s[4:5], v[14:15] op_sel_hi:[1,0,1]
	v_pk_add_f32 v[12:13], v[12:13], v[38:39]
	ds_write2_b64 v22, v[24:25], v[14:15] offset0:72 offset1:108
	v_pk_add_f32 v[12:13], v[12:13], v[42:43]
	v_pk_fma_f32 v[14:15], v[76:77], s[4:5], v[78:79] op_sel_hi:[1,0,1]
	ds_write2_b64 v153, v[12:13], v[14:15] offset1:36
	v_pk_add_f32 v[12:13], v[34:35], v[42:43]
	v_pk_add_f32 v[14:15], v[36:37], v[34:35] neg_lo:[0,1] neg_hi:[0,1]
	v_pk_fma_f32 v[12:13], v[12:13], 0.5, v[16:17] op_sel_hi:[1,0,1] neg_lo:[1,0,0] neg_hi:[1,0,0]
	v_pk_add_f32 v[16:17], v[38:39], v[42:43] neg_lo:[0,1] neg_hi:[0,1]
	s_nop 0
	v_pk_add_f32 v[14:15], v[14:15], v[16:17]
	v_pk_fma_f32 v[16:17], v[66:67], s[0:1], v[12:13] op_sel:[1,0,0] op_sel_hi:[0,0,1]
	v_pk_fma_f32 v[12:13], v[66:67], s[0:1], v[12:13] op_sel:[1,0,0] op_sel_hi:[0,0,1] neg_lo:[1,0,0] neg_hi:[1,0,0]
	v_pk_fma_f32 v[12:13], v[64:65], s[12:13], v[12:13] op_sel:[1,0,0] op_sel_hi:[0,0,1]
	v_pk_fma_f32 v[16:17], v[64:65], s[12:13], v[16:17] op_sel:[1,0,0] op_sel_hi:[0,0,1] neg_lo:[1,0,0] neg_hi:[1,0,0]
	v_mov_b32_e32 v18, v16
	v_mov_b32_e32 v19, v13
	;; [unrolled: 1-line block ×3, first 2 shown]
	v_pk_fma_f32 v[18:19], v[14:15], s[4:5], v[18:19] op_sel_hi:[1,0,1]
	v_pk_fma_f32 v[12:13], v[14:15], s[4:5], v[12:13] op_sel_hi:[1,0,1]
	ds_write2_b64 v153, v[18:19], v[12:13] offset0:72 offset1:108
	ds_write_b64 v153, v[0:1] offset:1152
	ds_write2_b64 v157, v[2:3], v[4:5] offset1:36
	ds_write2_b64 v157, v[6:7], v[8:9] offset0:72 offset1:108
	ds_write_b64 v157, v[10:11] offset:1152
	s_waitcnt lgkmcnt(0)
	; wave barrier
	s_waitcnt lgkmcnt(0)
	ds_read2_b64 v[12:15], v152 offset1:63
	ds_read2_b64 v[24:27], v152 offset0:180 offset1:243
	ds_read2_b64 v[16:19], v112 offset0:104 offset1:167
	;; [unrolled: 1-line block ×6, first 2 shown]
	s_and_saveexec_b64 s[0:1], s[2:3]
	s_cbranch_execz .LBB0_25
; %bb.24:
	v_add_u32_e32 v0, 0x200, v152
	v_add_u32_e32 v4, 0xe00, v152
	;; [unrolled: 1-line block ×3, first 2 shown]
	ds_read2_b64 v[0:3], v0 offset0:62 offset1:242
	ds_read2_b64 v[4:7], v4 offset0:38 offset1:218
	ds_read2_b64 v[8:11], v8 offset0:14 offset1:194
	ds_read_b64 v[40:41], v152 offset:9648
.LBB0_25:
	s_or_b64 exec, exec, s[0:1]
	s_waitcnt lgkmcnt(5)
	v_pk_mul_f32 v[42:43], v[100:101], v[24:25] op_sel_hi:[1,0]
	v_mov_b32_e32 v44, v25
	s_waitcnt lgkmcnt(3)
	v_pk_mul_f32 v[54:55], v[104:105], v[36:37] op_sel:[0,1] op_sel_hi:[1,0]
	s_waitcnt lgkmcnt(2)
	v_pk_mul_f32 v[58:59], v[106:107], v[32:33] op_sel:[0,1] op_sel_hi:[1,0]
	v_pk_mul_f32 v[46:47], v[102:103], v[16:17] op_sel_hi:[1,0]
	v_mov_b32_e32 v48, v17
	v_mov_b32_e32 v52, v105
	;; [unrolled: 1-line block ×5, first 2 shown]
	v_pk_fma_f32 v[44:45], v[100:101], v[44:45], v[42:43] op_sel:[0,0,1] op_sel_hi:[1,1,0] neg_lo:[0,0,1] neg_hi:[0,0,1]
	v_pk_fma_f32 v[24:25], v[100:101], v[24:25], v[42:43] op_sel:[0,1,1] op_sel_hi:[1,1,0]
	v_pk_mul_f32 v[50:51], v[104:105], v[36:37]
	v_pk_mul_f32 v[52:53], v[52:53], v[36:37] op_sel:[0,1] op_sel_hi:[1,0]
	v_pk_fma_f32 v[36:37], v[104:105], v[36:37], v[54:55] op_sel:[0,1,0] op_sel_hi:[1,0,1] neg_lo:[0,0,1] neg_hi:[0,0,1]
	v_pk_mul_f32 v[54:55], v[106:107], v[32:33]
	v_pk_mul_f32 v[56:57], v[56:57], v[32:33] op_sel:[0,1] op_sel_hi:[1,0]
	v_pk_fma_f32 v[32:33], v[106:107], v[32:33], v[58:59] op_sel:[0,1,0] op_sel_hi:[1,0,1] neg_lo:[0,0,1] neg_hi:[0,0,1]
	s_waitcnt lgkmcnt(1)
	v_pk_mul_f32 v[58:59], v[96:97], v[28:29] op_sel_hi:[1,0]
	v_mov_b32_e32 v64, v29
	v_mov_b32_e32 v45, v25
	v_pk_fma_f32 v[24:25], v[102:103], v[48:49], v[46:47] op_sel:[0,0,1] op_sel_hi:[1,1,0] neg_lo:[0,0,1] neg_hi:[0,0,1]
	v_pk_fma_f32 v[16:17], v[102:103], v[16:17], v[46:47] op_sel:[0,1,1] op_sel_hi:[1,1,0]
	s_waitcnt lgkmcnt(0)
	v_pk_mul_f32 v[66:67], v[98:99], v[20:21] op_sel_hi:[1,0]
	v_mov_b32_e32 v72, v21
	v_mov_b32_e32 v25, v17
	v_pk_fma_f32 v[16:17], v[96:97], v[64:65], v[58:59] op_sel:[0,0,1] op_sel_hi:[1,1,0] neg_lo:[0,0,1] neg_hi:[0,0,1]
	v_pk_fma_f32 v[28:29], v[96:97], v[28:29], v[58:59] op_sel:[0,1,1] op_sel_hi:[1,1,0]
	v_pk_fma_f32 v[20:21], v[98:99], v[20:21], v[66:67] op_sel:[0,1,1] op_sel_hi:[1,1,0]
	v_mov_b32_e32 v17, v29
	v_pk_fma_f32 v[28:29], v[98:99], v[72:73], v[66:67] op_sel:[0,0,1] op_sel_hi:[1,1,0] neg_lo:[0,0,1] neg_hi:[0,0,1]
	v_mov_b32_e32 v55, v44
	v_mov_b32_e32 v29, v21
	;; [unrolled: 1-line block ×5, first 2 shown]
	v_pk_add_f32 v[20:21], v[44:45], v[28:29]
	v_pk_add_f32 v[42:43], v[44:45], v[28:29] neg_lo:[0,1] neg_hi:[0,1]
	v_pk_add_f32 v[46:47], v[24:25], v[16:17]
	v_pk_add_f32 v[48:49], v[24:25], v[16:17] neg_lo:[0,1] neg_hi:[0,1]
	v_pk_add_f32 v[28:29], v[54:55], v[56:57]
	v_pk_add_f32 v[16:17], v[50:51], v[52:53]
	v_mov_b32_e32 v33, v28
	v_mov_b32_e32 v37, v16
	v_pk_add_f32 v[24:25], v[32:33], v[36:37] neg_lo:[0,1] neg_hi:[0,1]
	v_mov_b32_e32 v54, v47
	v_mov_b32_e32 v55, v36
	;; [unrolled: 1-line block ×8, first 2 shown]
	s_mov_b32 s4, 0x3f08b237
	v_pk_add_f32 v[32:33], v[54:55], v[36:37]
	v_pk_add_f32 v[36:37], v[16:17], v[28:29]
	s_mov_b32 s18, 0x3d64c772
	v_pk_add_f32 v[44:45], v[44:45], v[50:51] neg_lo:[0,1] neg_hi:[0,1]
	s_mov_b32 s5, 0xbeae86e6
	v_mov_b32_e32 v50, v42
	v_mov_b32_e32 v52, v24
	;; [unrolled: 1-line block ×8, first 2 shown]
	s_mov_b32 s19, 0x3f4a47b2
	v_pk_add_f32 v[50:51], v[50:51], v[52:53] neg_lo:[0,1] neg_hi:[0,1]
	s_mov_b32 s16, s5
	s_mov_b32 s17, s4
	v_pk_add_f32 v[54:55], v[28:29], v[54:55] neg_lo:[0,1] neg_hi:[0,1]
	v_pk_add_f32 v[56:57], v[56:57], v[16:17] neg_lo:[0,1] neg_hi:[0,1]
	s_mov_b32 s20, s19
	s_mov_b32 s21, s18
	v_pk_mul_f32 v[44:45], v[44:45], s[4:5]
	v_pk_mul_f32 v[52:53], v[50:51], s[16:17]
	v_pk_add_f32 v[24:25], v[24:25], v[48:49]
	v_pk_add_f32 v[32:33], v[32:33], v[36:37]
	v_pk_mul_f32 v[36:37], v[54:55], s[18:19]
	v_pk_mul_f32 v[54:55], v[56:57], s[20:21]
	v_mov_b32_e32 v16, v47
	v_mov_b32_e32 v28, v21
	v_pk_add_f32 v[24:25], v[24:25], v[42:43]
	v_pk_add_f32 v[12:13], v[12:13], v[32:33]
	s_mov_b32 s22, 0x3f955555
	v_pk_add_f32 v[42:43], v[48:49], v[42:43] neg_lo:[0,1] neg_hi:[0,1]
	s_mov_b32 s12, 0xbf5ff5aa
	v_pk_add_f32 v[16:17], v[16:17], v[28:29] neg_lo:[0,1] neg_hi:[0,1]
	s_mov_b32 s14, 0x3f3bfb3b
	v_mov_b32_e32 v20, v54
	v_mov_b32_e32 v21, v37
	;; [unrolled: 1-line block ×4, first 2 shown]
	s_mov_b32 s0, 0xbee1c552
	v_pk_fma_f32 v[32:33], v[32:33], s[22:23], v[12:13] op_sel_hi:[1,0,1] neg_lo:[1,0,0] neg_hi:[1,0,0]
	v_pk_fma_f32 v[20:21], v[16:17], s[14:15], v[20:21] op_sel_hi:[1,0,1] neg_lo:[1,0,1] neg_hi:[1,0,1]
	;; [unrolled: 1-line block ×3, first 2 shown]
	v_pk_add_f32 v[20:21], v[20:21], v[32:33]
	v_pk_fma_f32 v[28:29], v[24:25], s[0:1], v[28:29] op_sel_hi:[1,0,1]
	v_pk_fma_f32 v[56:57], v[56:57], s[20:21], v[36:37]
	v_pk_add_f32 v[46:47], v[20:21], v[28:29]
	v_pk_add_f32 v[20:21], v[20:21], v[28:29] neg_lo:[0,1] neg_hi:[0,1]
	v_pk_fma_f32 v[50:51], v[50:51], s[16:17], v[44:45]
	v_mov_b32_e32 v28, v46
	v_mov_b32_e32 v29, v21
	;; [unrolled: 1-line block ×4, first 2 shown]
	ds_write_b64 v152, v[28:29] offset:2880
	v_pk_fma_f32 v[16:17], v[16:17], s[14:15], v[36:37] op_sel_hi:[1,0,1] neg_lo:[0,0,1] neg_hi:[0,0,1]
	v_pk_fma_f32 v[28:29], v[42:43], s[12:13], v[44:45] op_sel_hi:[1,0,1] neg_lo:[0,0,1] neg_hi:[0,0,1]
	v_pk_mul_f32 v[104:105], v[108:109], v[38:39] op_sel:[0,1] op_sel_hi:[1,0]
	v_pk_fma_f32 v[50:51], v[24:25], s[0:1], v[50:51] op_sel_hi:[1,0,1]
	v_pk_add_f32 v[16:17], v[16:17], v[32:33]
	v_pk_fma_f32 v[24:25], v[24:25], s[0:1], v[28:29] op_sel_hi:[1,0,1]
	v_mov_b32_e32 v86, v109
	v_mov_b32_e32 v104, v105
	v_pk_add_f32 v[28:29], v[16:17], v[24:25] neg_lo:[0,1] neg_hi:[0,1]
	v_pk_add_f32 v[16:17], v[16:17], v[24:25]
	v_pk_mul_f32 v[74:75], v[92:93], v[26:27] op_sel_hi:[1,0]
	v_mov_b32_e32 v76, v27
	v_pk_mul_f32 v[82:83], v[108:109], v[38:39]
	v_pk_mul_f32 v[86:87], v[86:87], v[38:39] op_sel:[0,1] op_sel_hi:[1,0]
	v_pk_fma_f32 v[38:39], v[108:109], v[38:39], v[104:105] op_sel:[0,1,0] op_sel_hi:[1,0,1] neg_lo:[0,0,1] neg_hi:[0,0,1]
	v_pk_mul_f32 v[108:109], v[110:111], v[34:35] op_sel:[0,1] op_sel_hi:[1,0]
	v_mov_b32_e32 v25, v17
	v_mov_b32_e32 v17, v29
	;; [unrolled: 1-line block ×3, first 2 shown]
	v_pk_mul_f32 v[78:79], v[94:95], v[18:19] op_sel_hi:[1,0]
	v_mov_b32_e32 v80, v19
	v_mov_b32_e32 v106, v111
	;; [unrolled: 1-line block ×3, first 2 shown]
	ds_write_b64 v152, v[16:17] offset:5760
	ds_write_b64 v152, v[20:21] offset:7200
	v_pk_fma_f32 v[16:17], v[92:93], v[76:77], v[74:75] op_sel:[0,0,1] op_sel_hi:[1,1,0] neg_lo:[0,0,1] neg_hi:[0,0,1]
	v_pk_fma_f32 v[20:21], v[92:93], v[26:27], v[74:75] op_sel:[0,1,1] op_sel_hi:[1,1,0]
	v_pk_mul_f32 v[104:105], v[110:111], v[34:35]
	v_pk_mul_f32 v[106:107], v[106:107], v[34:35] op_sel:[0,1] op_sel_hi:[1,0]
	v_pk_fma_f32 v[34:35], v[110:111], v[34:35], v[108:109] op_sel:[0,1,0] op_sel_hi:[1,0,1] neg_lo:[0,0,1] neg_hi:[0,0,1]
	v_pk_mul_f32 v[108:109], v[88:89], v[30:31] op_sel_hi:[1,0]
	v_mov_b32_e32 v110, v31
	v_mov_b32_e32 v24, v28
	;; [unrolled: 1-line block ×3, first 2 shown]
	v_pk_fma_f32 v[20:21], v[94:95], v[80:81], v[78:79] op_sel:[0,0,1] op_sel_hi:[1,1,0] neg_lo:[0,0,1] neg_hi:[0,0,1]
	v_pk_fma_f32 v[18:19], v[94:95], v[18:19], v[78:79] op_sel:[0,1,1] op_sel_hi:[1,1,0]
	v_pk_mul_f32 v[112:113], v[90:91], v[22:23] op_sel_hi:[1,0]
	v_mov_b32_e32 v114, v23
	ds_write_b64 v152, v[24:25] offset:4320
	v_mov_b32_e32 v21, v19
	v_pk_fma_f32 v[18:19], v[88:89], v[110:111], v[108:109] op_sel:[0,0,1] op_sel_hi:[1,1,0] neg_lo:[0,0,1] neg_hi:[0,0,1]
	v_pk_fma_f32 v[24:25], v[88:89], v[30:31], v[108:109] op_sel:[0,1,1] op_sel_hi:[1,1,0]
	v_pk_fma_f32 v[22:23], v[90:91], v[22:23], v[112:113] op_sel:[0,1,1] op_sel_hi:[1,1,0]
	v_mov_b32_e32 v19, v25
	v_pk_fma_f32 v[24:25], v[90:91], v[114:115], v[112:113] op_sel:[0,0,1] op_sel_hi:[1,1,0] neg_lo:[0,0,1] neg_hi:[0,0,1]
	v_mov_b32_e32 v105, v16
	v_mov_b32_e32 v25, v23
	;; [unrolled: 1-line block ×5, first 2 shown]
	v_pk_add_f32 v[22:23], v[16:17], v[24:25]
	v_pk_add_f32 v[26:27], v[16:17], v[24:25] neg_lo:[0,1] neg_hi:[0,1]
	v_pk_add_f32 v[28:29], v[20:21], v[18:19]
	v_pk_add_f32 v[30:31], v[20:21], v[18:19] neg_lo:[0,1] neg_hi:[0,1]
	v_pk_add_f32 v[16:17], v[104:105], v[106:107]
	v_pk_add_f32 v[18:19], v[82:83], v[86:87]
	v_mov_b32_e32 v35, v16
	v_mov_b32_e32 v39, v18
	v_pk_add_f32 v[20:21], v[34:35], v[38:39] neg_lo:[0,1] neg_hi:[0,1]
	v_mov_b32_e32 v42, v29
	v_mov_b32_e32 v43, v38
	v_mov_b32_e32 v38, v23
	v_mov_b32_e32 v39, v34
	v_pk_add_f32 v[34:35], v[42:43], v[38:39]
	v_pk_add_f32 v[38:39], v[18:19], v[16:17]
	;; [unrolled: 1-line block ×3, first 2 shown]
	v_mov_b32_e32 v24, v20
	v_mov_b32_e32 v25, v27
	;; [unrolled: 1-line block ×6, first 2 shown]
	v_pk_add_f32 v[24:25], v[24:25], v[32:33] neg_lo:[0,1] neg_hi:[0,1]
	v_mov_b32_e32 v32, v26
	v_mov_b32_e32 v36, v20
	;; [unrolled: 1-line block ×3, first 2 shown]
	v_pk_add_f32 v[42:43], v[16:17], v[42:43] neg_lo:[0,1] neg_hi:[0,1]
	v_mov_b32_e32 v44, v23
	v_mov_b32_e32 v45, v35
	;; [unrolled: 1-line block ×3, first 2 shown]
	v_pk_add_f32 v[34:35], v[34:35], v[38:39]
	v_pk_mul_f32 v[24:25], v[24:25], s[4:5]
	v_pk_add_f32 v[32:33], v[32:33], v[36:37] neg_lo:[0,1] neg_hi:[0,1]
	v_pk_add_f32 v[20:21], v[20:21], v[30:31]
	v_pk_add_f32 v[44:45], v[44:45], v[18:19] neg_lo:[0,1] neg_hi:[0,1]
	v_pk_add_f32 v[14:15], v[14:15], v[34:35]
	v_pk_mul_f32 v[38:39], v[42:43], s[18:19]
	v_pk_mul_f32 v[36:37], v[32:33], s[16:17]
	v_pk_add_f32 v[20:21], v[20:21], v[26:27]
	v_pk_mul_f32 v[42:43], v[44:45], s[20:21]
	v_pk_fma_f32 v[34:35], v[34:35], s[22:23], v[14:15] op_sel_hi:[1,0,1] neg_lo:[1,0,0] neg_hi:[1,0,0]
	v_pk_fma_f32 v[44:45], v[44:45], s[20:21], v[38:39]
	v_pk_fma_f32 v[32:33], v[32:33], s[16:17], v[24:25]
	v_pk_add_f32 v[58:59], v[56:57], v[50:51]
	v_pk_add_f32 v[50:51], v[56:57], v[50:51] neg_lo:[0,1] neg_hi:[0,1]
	v_pk_add_f32 v[44:45], v[44:45], v[34:35]
	v_pk_fma_f32 v[32:33], v[20:21], s[0:1], v[32:33] op_sel_hi:[1,0,1]
	v_mov_b32_e32 v56, v58
	v_mov_b32_e32 v57, v51
	;; [unrolled: 1-line block ×3, first 2 shown]
	v_pk_add_f32 v[46:47], v[44:45], v[32:33]
	v_pk_add_f32 v[32:33], v[44:45], v[32:33] neg_lo:[0,1] neg_hi:[0,1]
	ds_write_b64 v152, v[56:57] offset:1440
	ds_write_b64 v152, v[50:51] offset:8640
	ds_write2_b64 v152, v[12:13], v[14:15] offset1:63
	v_mov_b32_e32 v12, v46
	v_mov_b32_e32 v13, v33
	;; [unrolled: 1-line block ×4, first 2 shown]
	ds_write_b64 v152, v[12:13] offset:1944
	v_pk_add_f32 v[12:13], v[30:31], v[26:27] neg_lo:[0,1] neg_hi:[0,1]
	v_pk_add_f32 v[14:15], v[18:19], v[16:17] neg_lo:[0,1] neg_hi:[0,1]
	v_mov_b32_e32 v16, v42
	v_mov_b32_e32 v17, v39
	;; [unrolled: 1-line block ×4, first 2 shown]
	v_pk_fma_f32 v[16:17], v[14:15], s[14:15], v[16:17] op_sel_hi:[1,0,1] neg_lo:[1,0,1] neg_hi:[1,0,1]
	v_pk_fma_f32 v[18:19], v[12:13], s[12:13], v[18:19] op_sel_hi:[1,0,1] neg_lo:[1,0,1] neg_hi:[1,0,1]
	v_pk_add_f32 v[16:17], v[16:17], v[34:35]
	v_pk_fma_f32 v[18:19], v[20:21], s[0:1], v[18:19] op_sel_hi:[1,0,1]
	v_mov_b32_e32 v39, v43
	v_mov_b32_e32 v25, v37
	v_pk_add_f32 v[22:23], v[16:17], v[18:19]
	v_pk_add_f32 v[16:17], v[16:17], v[18:19] neg_lo:[0,1] neg_hi:[0,1]
	v_pk_fma_f32 v[14:15], v[14:15], s[14:15], v[38:39] op_sel_hi:[1,0,1] neg_lo:[0,0,1] neg_hi:[0,0,1]
	v_pk_fma_f32 v[12:13], v[12:13], s[12:13], v[24:25] op_sel_hi:[1,0,1] neg_lo:[0,0,1] neg_hi:[0,0,1]
	v_mov_b32_e32 v18, v22
	v_mov_b32_e32 v19, v17
	v_pk_add_f32 v[14:15], v[14:15], v[34:35]
	v_pk_fma_f32 v[12:13], v[20:21], s[0:1], v[12:13] op_sel_hi:[1,0,1]
	ds_write_b64 v152, v[18:19] offset:3384
	v_pk_add_f32 v[18:19], v[14:15], v[12:13] neg_lo:[0,1] neg_hi:[0,1]
	v_pk_add_f32 v[12:13], v[14:15], v[12:13]
	v_mov_b32_e32 v14, v18
	v_mov_b32_e32 v15, v13
	;; [unrolled: 1-line block ×5, first 2 shown]
	ds_write_b64 v152, v[14:15] offset:4824
	ds_write_b64 v152, v[12:13] offset:6264
	;; [unrolled: 1-line block ×4, first 2 shown]
	s_and_saveexec_b64 s[22:23], s[2:3]
	s_cbranch_execz .LBB0_27
; %bb.26:
	v_mov_b32_e32 v14, v85
	v_mov_b32_e32 v15, v84
	v_pk_mul_f32 v[32:33], v[14:15], v[6:7]
	v_mov_b32_e32 v26, v7
	v_mov_b32_e32 v32, v33
	v_pk_mul_f32 v[24:25], v[84:85], v[6:7]
	v_pk_mul_f32 v[26:27], v[14:15], v[26:27]
	v_pk_fma_f32 v[6:7], v[14:15], v[6:7], v[32:33] neg_lo:[1,0,0] neg_hi:[1,0,0]
	v_pk_mul_f32 v[14:15], v[230:231], v[8:9]
	v_mov_b32_e32 v12, v231
	v_mov_b32_e32 v13, v230
	v_pk_mul_f32 v[18:19], v[70:71], v[40:41] op_sel_hi:[1,0]
	v_mov_b32_e32 v20, v41
	v_mov_b32_e32 v14, v15
	v_pk_mul_f32 v[16:17], v[60:61], v[2:3] op_sel_hi:[1,0]
	v_pk_mul_f32 v[12:13], v[12:13], v[8:9]
	v_mov_b32_e32 v22, v9
	v_pk_fma_f32 v[8:9], v[230:231], v[8:9], v[14:15] neg_lo:[1,0,0] neg_hi:[1,0,0]
	v_pk_fma_f32 v[14:15], v[70:71], v[20:21], v[18:19] op_sel:[0,0,1] op_sel_hi:[1,0,0] neg_lo:[0,0,1] neg_hi:[0,0,1]
	v_pk_fma_f32 v[18:19], v[70:71], v[20:21], v[18:19] op_sel:[0,0,1] op_sel_hi:[1,0,0]
	v_pk_mul_f32 v[30:31], v[68:69], v[10:11] op_sel_hi:[1,0]
	v_mov_b32_e32 v15, v19
	v_pk_fma_f32 v[18:19], v[60:61], v[2:3], v[16:17] op_sel:[0,1,1] op_sel_hi:[1,1,0] neg_lo:[0,0,1] neg_hi:[0,0,1]
	v_pk_fma_f32 v[2:3], v[60:61], v[2:3], v[16:17] op_sel:[0,1,1] op_sel_hi:[1,1,0]
	v_pk_mul_f32 v[28:29], v[62:63], v[4:5] op_sel_hi:[1,0]
	v_mov_b32_e32 v19, v3
	v_pk_fma_f32 v[2:3], v[68:69], v[10:11], v[30:31] op_sel:[0,1,1] op_sel_hi:[1,1,0] neg_lo:[0,0,1] neg_hi:[0,0,1]
	v_pk_fma_f32 v[10:11], v[68:69], v[10:11], v[30:31] op_sel:[0,1,1] op_sel_hi:[1,1,0]
	v_pk_mul_f32 v[22:23], v[230:231], v[22:23]
	v_mov_b32_e32 v3, v11
	v_pk_fma_f32 v[10:11], v[62:63], v[4:5], v[28:29] op_sel:[0,1,1] op_sel_hi:[1,1,0] neg_lo:[0,0,1] neg_hi:[0,0,1]
	v_pk_fma_f32 v[4:5], v[62:63], v[4:5], v[28:29] op_sel:[0,1,1] op_sel_hi:[1,1,0]
	v_mov_b32_e32 v13, v14
	v_mov_b32_e32 v11, v5
	;; [unrolled: 1-line block ×5, first 2 shown]
	v_pk_add_f32 v[16:17], v[2:3], v[10:11]
	v_pk_add_f32 v[28:29], v[10:11], v[2:3] neg_lo:[0,1] neg_hi:[0,1]
	v_pk_add_f32 v[12:13], v[12:13], v[22:23]
	v_pk_add_f32 v[2:3], v[24:25], v[26:27]
	v_mov_b32_e32 v9, v12
	v_mov_b32_e32 v7, v2
	v_pk_add_f32 v[20:21], v[18:19], v[14:15] neg_lo:[0,1] neg_hi:[0,1]
	v_pk_add_f32 v[10:11], v[8:9], v[6:7] neg_lo:[0,1] neg_hi:[0,1]
	v_pk_add_f32 v[4:5], v[14:15], v[18:19]
	v_mov_b32_e32 v18, v10
	v_pk_add_f32 v[22:23], v[10:11], v[28:29]
	v_mov_b32_e32 v24, v10
	v_mov_b32_e32 v25, v21
	;; [unrolled: 1-line block ×4, first 2 shown]
	v_pk_add_f32 v[10:11], v[24:25], v[10:11] neg_lo:[0,1] neg_hi:[0,1]
	v_mov_b32_e32 v24, v17
	v_mov_b32_e32 v25, v6
	;; [unrolled: 1-line block ×4, first 2 shown]
	v_pk_add_f32 v[6:7], v[24:25], v[6:7]
	v_pk_add_f32 v[8:9], v[2:3], v[12:13]
	v_mov_b32_e32 v14, v20
	v_pk_add_f32 v[24:25], v[6:7], v[8:9]
	v_mov_b32_e32 v6, v5
	v_mov_b32_e32 v9, v3
	v_pk_add_f32 v[26:27], v[6:7], v[8:9] neg_lo:[0,1] neg_hi:[0,1]
	v_mov_b32_e32 v9, v13
	v_mov_b32_e32 v6, v17
	;; [unrolled: 1-line block ×3, first 2 shown]
	v_pk_add_f32 v[6:7], v[8:9], v[6:7] neg_lo:[0,1] neg_hi:[0,1]
	v_pk_add_f32 v[14:15], v[14:15], v[18:19] neg_lo:[0,1] neg_hi:[0,1]
	v_pk_mul_f32 v[10:11], v[10:11], s[4:5]
	v_pk_add_f32 v[0:1], v[0:1], v[24:25]
	v_pk_mul_f32 v[6:7], v[6:7], s[18:19]
	s_mov_b32 s2, 0xbf955555
	v_pk_mul_f32 v[18:19], v[14:15], s[16:17]
	v_pk_add_f32 v[22:23], v[22:23], v[20:21]
	v_pk_fma_f32 v[14:15], v[14:15], s[16:17], v[10:11]
	v_pk_fma_f32 v[8:9], v[26:27], s[20:21], v[6:7]
	v_pk_fma_f32 v[24:25], v[24:25], s[2:3], v[0:1] op_sel_hi:[1,0,1]
	v_pk_fma_f32 v[14:15], v[22:23], s[0:1], v[14:15] op_sel_hi:[1,0,1]
	v_pk_add_f32 v[8:9], v[8:9], v[24:25]
	v_pk_mul_f32 v[30:31], v[26:27], s[20:21]
	v_pk_add_f32 v[26:27], v[8:9], v[14:15]
	v_pk_add_f32 v[8:9], v[8:9], v[14:15] neg_lo:[0,1] neg_hi:[0,1]
	v_mov_b32_e32 v14, v26
	v_mov_b32_e32 v15, v9
	v_add_u32_e32 v2, 0x200, v152
	ds_write2_b64 v2, v[0:1], v[14:15] offset0:62 offset1:242
	v_mov_b32_e32 v2, v17
	v_mov_b32_e32 v12, v5
	v_pk_add_f32 v[0:1], v[28:29], v[20:21] neg_lo:[0,1] neg_hi:[0,1]
	v_mov_b32_e32 v14, v18
	v_mov_b32_e32 v15, v11
	v_pk_add_f32 v[2:3], v[2:3], v[12:13] neg_lo:[0,1] neg_hi:[0,1]
	v_mov_b32_e32 v4, v30
	v_mov_b32_e32 v5, v7
	;; [unrolled: 1-line block ×4, first 2 shown]
	v_pk_fma_f32 v[14:15], v[0:1], s[12:13], v[14:15] op_sel_hi:[1,0,1] neg_lo:[1,0,1] neg_hi:[1,0,1]
	v_pk_fma_f32 v[4:5], v[2:3], s[14:15], v[4:5] op_sel_hi:[1,0,1] neg_lo:[1,0,1] neg_hi:[1,0,1]
	;; [unrolled: 1-line block ×4, first 2 shown]
	v_pk_fma_f32 v[14:15], v[22:23], s[0:1], v[14:15] op_sel_hi:[1,0,1]
	v_pk_add_f32 v[4:5], v[4:5], v[24:25]
	v_pk_fma_f32 v[0:1], v[22:23], s[0:1], v[0:1] op_sel_hi:[1,0,1]
	v_pk_add_f32 v[2:3], v[2:3], v[24:25]
	v_pk_add_f32 v[12:13], v[4:5], v[14:15]
	v_pk_add_f32 v[4:5], v[4:5], v[14:15] neg_lo:[0,1] neg_hi:[0,1]
	v_pk_add_f32 v[6:7], v[2:3], v[0:1] neg_lo:[0,1] neg_hi:[0,1]
	v_pk_add_f32 v[0:1], v[2:3], v[0:1]
	v_mov_b32_e32 v14, v12
	v_mov_b32_e32 v15, v5
	;; [unrolled: 1-line block ×4, first 2 shown]
	v_add_u32_e32 v1, 0xe00, v152
	ds_write2_b64 v1, v[14:15], v[2:3] offset0:38 offset1:218
	v_mov_b32_e32 v1, v7
	v_mov_b32_e32 v5, v13
	v_add_u32_e32 v2, 0x1a00, v152
	v_mov_b32_e32 v9, v27
	ds_write2_b64 v2, v[0:1], v[4:5] offset0:14 offset1:194
	ds_write_b64 v152, v[8:9] offset:9648
.LBB0_27:
	s_or_b64 exec, exec, s[22:23]
	s_waitcnt lgkmcnt(0)
	; wave barrier
	s_waitcnt lgkmcnt(0)
	ds_read2_b64 v[0:3], v152 offset1:63
	v_mad_u64_u32 v[10:11], s[0:1], s10, v164, 0
	v_mov_b32_e32 v4, v11
	v_mad_u64_u32 v[4:5], s[0:1], s11, v164, v[4:5]
	v_mov_b32_e32 v11, v4
	s_waitcnt lgkmcnt(0)
	v_mul_f32_e32 v4, v177, v1
	v_fmac_f32_e32 v4, v176, v0
	v_mul_f32_e32 v0, v177, v0
	s_mov_b32 s0, 0x1a01a01a
	v_fma_f32 v0, v176, v1, -v0
	s_mov_b32 s1, 0x3f4a01a0
	v_cvt_f64_f32_e32 v[0:1], v0
	v_cvt_f64_f32_e32 v[4:5], v4
	v_mul_f64 v[0:1], v[0:1], s[0:1]
	v_mul_f64 v[4:5], v[4:5], s[0:1]
	v_cvt_f32_f64_e32 v13, v[0:1]
	v_mad_u64_u32 v[0:1], s[2:3], s8, v156, 0
	v_cvt_f32_f64_e32 v12, v[4:5]
	v_mov_b32_e32 v4, v1
	v_add_u32_e32 v1, 0x1000, v152
	v_mad_u64_u32 v[14:15], s[2:3], s9, v156, v[4:5]
	ds_read2_b64 v[4:7], v1 offset0:118 offset1:181
	v_mov_b32_e32 v8, s6
	v_mov_b32_e32 v9, s7
	;; [unrolled: 1-line block ×3, first 2 shown]
	v_lshl_add_u64 v[8:9], v[10:11], 3, v[8:9]
	v_lshl_add_u64 v[0:1], v[0:1], 3, v[8:9]
	s_waitcnt lgkmcnt(0)
	v_mul_f32_e32 v8, v175, v5
	v_fmac_f32_e32 v8, v174, v4
	v_mul_f32_e32 v4, v175, v4
	global_store_dwordx2 v[0:1], v[12:13], off
	v_fma_f32 v4, v174, v5, -v4
	v_mov_b32_e32 v12, 0x13b0
	v_cvt_f64_f32_e32 v[8:9], v8
	v_cvt_f64_f32_e32 v[4:5], v4
	v_mad_u64_u32 v[0:1], s[2:3], s8, v12, v[0:1]
	v_mul_f64 v[8:9], v[8:9], s[0:1]
	v_mul_f64 v[4:5], v[4:5], s[0:1]
	s_mul_i32 s2, s9, 0x13b0
	v_cvt_f32_f64_e32 v8, v[8:9]
	v_cvt_f32_f64_e32 v9, v[4:5]
	v_add_u32_e32 v1, s2, v1
	global_store_dwordx2 v[0:1], v[8:9], off
	v_accvgpr_read_b32 v8, a14
	v_accvgpr_read_b32 v9, a15
	v_mul_f32_e32 v4, v9, v3
	v_fmac_f32_e32 v4, v8, v2
	v_mul_f32_e32 v2, v9, v2
	v_fma_f32 v2, v8, v3, -v2
	v_cvt_f64_f32_e32 v[4:5], v4
	v_cvt_f64_f32_e32 v[2:3], v2
	v_mul_f64 v[4:5], v[4:5], s[0:1]
	v_mul_f64 v[2:3], v[2:3], s[0:1]
	v_cvt_f32_f64_e32 v4, v[4:5]
	v_cvt_f32_f64_e32 v5, v[2:3]
	v_accvgpr_read_b32 v2, a12
	v_mov_b32_e32 v13, 0xffffee48
	v_accvgpr_read_b32 v3, a13
	v_mad_u64_u32 v[8:9], s[4:5], s8, v13, v[0:1]
	v_mul_f32_e32 v0, v3, v7
	s_mul_i32 s3, s9, 0xffffee48
	v_fmac_f32_e32 v0, v2, v6
	s_sub_i32 s3, s3, s8
	v_cvt_f64_f32_e32 v[0:1], v0
	v_add_u32_e32 v9, s3, v9
	v_mul_f64 v[0:1], v[0:1], s[0:1]
	global_store_dwordx2 v[8:9], v[4:5], off
	v_cvt_f32_f64_e32 v4, v[0:1]
	v_mul_f32_e32 v0, v3, v6
	v_fma_f32 v0, v2, v7, -v0
	v_cvt_f64_f32_e32 v[0:1], v0
	v_mul_f64 v[0:1], v[0:1], s[0:1]
	v_cvt_f32_f64_e32 v5, v[0:1]
	ds_read2_b64 v[0:3], v152 offset0:126 offset1:189
	v_mad_u64_u32 v[8:9], s[4:5], s8, v12, v[8:9]
	v_accvgpr_read_b32 v6, a8
	v_add_u32_e32 v9, s2, v9
	v_accvgpr_read_b32 v7, a9
	global_store_dwordx2 v[8:9], v[4:5], off
	s_waitcnt lgkmcnt(0)
	v_mul_f32_e32 v4, v7, v1
	v_fmac_f32_e32 v4, v6, v0
	v_mul_f32_e32 v0, v7, v0
	v_fma_f32 v0, v6, v1, -v0
	v_cvt_f64_f32_e32 v[0:1], v0
	v_cvt_f64_f32_e32 v[4:5], v4
	v_mul_f64 v[0:1], v[0:1], s[0:1]
	v_mul_f64 v[4:5], v[4:5], s[0:1]
	v_cvt_f32_f64_e32 v11, v[0:1]
	v_add_u32_e32 v0, 0x1400, v152
	v_cvt_f32_f64_e32 v10, v[4:5]
	ds_read2_b64 v[4:7], v0 offset0:116 offset1:179
	v_mad_u64_u32 v[0:1], s[4:5], s8, v13, v[8:9]
	v_add_u32_e32 v1, s3, v1
	global_store_dwordx2 v[0:1], v[10:11], off
	s_waitcnt lgkmcnt(0)
	v_mul_f32_e32 v8, v181, v5
	v_fmac_f32_e32 v8, v180, v4
	v_mul_f32_e32 v4, v181, v4
	v_fma_f32 v4, v180, v5, -v4
	v_cvt_f64_f32_e32 v[8:9], v8
	v_cvt_f64_f32_e32 v[4:5], v4
	v_mul_f64 v[8:9], v[8:9], s[0:1]
	v_mul_f64 v[4:5], v[4:5], s[0:1]
	v_mad_u64_u32 v[0:1], s[4:5], s8, v12, v[0:1]
	v_cvt_f32_f64_e32 v8, v[8:9]
	v_cvt_f32_f64_e32 v9, v[4:5]
	v_add_u32_e32 v1, s2, v1
	global_store_dwordx2 v[0:1], v[8:9], off
	v_accvgpr_read_b32 v9, a5
	v_accvgpr_read_b32 v8, a4
	v_mul_f32_e32 v4, v9, v3
	v_fmac_f32_e32 v4, v8, v2
	v_mul_f32_e32 v2, v9, v2
	v_fma_f32 v2, v8, v3, -v2
	v_mad_u64_u32 v[8:9], s[4:5], s8, v13, v[0:1]
	v_mul_f32_e32 v0, v197, v7
	v_cvt_f64_f32_e32 v[4:5], v4
	v_cvt_f64_f32_e32 v[2:3], v2
	v_fmac_f32_e32 v0, v196, v6
	v_mul_f64 v[4:5], v[4:5], s[0:1]
	v_mul_f64 v[2:3], v[2:3], s[0:1]
	v_cvt_f64_f32_e32 v[0:1], v0
	v_cvt_f32_f64_e32 v4, v[4:5]
	v_cvt_f32_f64_e32 v5, v[2:3]
	v_add_u32_e32 v9, s3, v9
	v_mul_f64 v[0:1], v[0:1], s[0:1]
	global_store_dwordx2 v[8:9], v[4:5], off
	v_cvt_f32_f64_e32 v4, v[0:1]
	v_mul_f32_e32 v0, v197, v6
	v_fma_f32 v0, v196, v7, -v0
	v_cvt_f64_f32_e32 v[0:1], v0
	v_mul_f64 v[0:1], v[0:1], s[0:1]
	v_cvt_f32_f64_e32 v5, v[0:1]
	v_add_u32_e32 v0, 0x400, v152
	ds_read2_b64 v[0:3], v0 offset0:124 offset1:187
	v_mad_u64_u32 v[8:9], s[4:5], s8, v12, v[8:9]
	v_add_u32_e32 v9, s2, v9
	v_accvgpr_read_b32 v7, a3
	global_store_dwordx2 v[8:9], v[4:5], off
	v_accvgpr_read_b32 v6, a2
	s_waitcnt lgkmcnt(0)
	v_mul_f32_e32 v4, v7, v1
	v_fmac_f32_e32 v4, v6, v0
	v_mul_f32_e32 v0, v7, v0
	v_fma_f32 v0, v6, v1, -v0
	v_cvt_f64_f32_e32 v[0:1], v0
	v_cvt_f64_f32_e32 v[4:5], v4
	v_mul_f64 v[0:1], v[0:1], s[0:1]
	v_mul_f64 v[4:5], v[4:5], s[0:1]
	v_cvt_f32_f64_e32 v11, v[0:1]
	v_add_u32_e32 v0, 0x1800, v152
	v_cvt_f32_f64_e32 v10, v[4:5]
	ds_read2_b64 v[4:7], v0 offset0:114 offset1:177
	v_mad_u64_u32 v[0:1], s[4:5], s8, v13, v[8:9]
	v_add_u32_e32 v1, s3, v1
	global_store_dwordx2 v[0:1], v[10:11], off
	s_waitcnt lgkmcnt(0)
	v_mul_f32_e32 v8, v195, v5
	v_fmac_f32_e32 v8, v194, v4
	v_mul_f32_e32 v4, v195, v4
	v_fma_f32 v4, v194, v5, -v4
	v_cvt_f64_f32_e32 v[8:9], v8
	v_cvt_f64_f32_e32 v[4:5], v4
	v_mul_f64 v[8:9], v[8:9], s[0:1]
	v_mul_f64 v[4:5], v[4:5], s[0:1]
	v_cvt_f32_f64_e32 v8, v[8:9]
	v_cvt_f32_f64_e32 v9, v[4:5]
	v_mad_u64_u32 v[0:1], s[4:5], s8, v12, v[0:1]
	v_mul_f32_e32 v4, v193, v3
	v_add_u32_e32 v1, s2, v1
	v_fmac_f32_e32 v4, v192, v2
	v_mul_f32_e32 v2, v193, v2
	global_store_dwordx2 v[0:1], v[8:9], off
	v_fma_f32 v2, v192, v3, -v2
	v_mad_u64_u32 v[8:9], s[4:5], s8, v13, v[0:1]
	v_mul_f32_e32 v0, v191, v7
	v_cvt_f64_f32_e32 v[4:5], v4
	v_cvt_f64_f32_e32 v[2:3], v2
	v_fmac_f32_e32 v0, v190, v6
	v_mul_f64 v[4:5], v[4:5], s[0:1]
	v_mul_f64 v[2:3], v[2:3], s[0:1]
	v_cvt_f64_f32_e32 v[0:1], v0
	v_cvt_f32_f64_e32 v4, v[4:5]
	v_cvt_f32_f64_e32 v5, v[2:3]
	v_add_u32_e32 v9, s3, v9
	v_mul_f64 v[0:1], v[0:1], s[0:1]
	global_store_dwordx2 v[8:9], v[4:5], off
	v_cvt_f32_f64_e32 v4, v[0:1]
	v_mul_f32_e32 v0, v191, v6
	v_fma_f32 v0, v190, v7, -v0
	v_cvt_f64_f32_e32 v[0:1], v0
	v_mul_f64 v[0:1], v[0:1], s[0:1]
	v_cvt_f32_f64_e32 v5, v[0:1]
	v_add_u32_e32 v0, 0x800, v152
	ds_read2_b64 v[0:3], v0 offset0:122 offset1:185
	v_mad_u64_u32 v[8:9], s[4:5], s8, v12, v[8:9]
	v_add_u32_e32 v9, s2, v9
	global_store_dwordx2 v[8:9], v[4:5], off
	s_waitcnt lgkmcnt(0)
	v_mul_f32_e32 v4, v189, v1
	v_fmac_f32_e32 v4, v188, v0
	v_mul_f32_e32 v0, v189, v0
	v_fma_f32 v0, v188, v1, -v0
	v_cvt_f64_f32_e32 v[0:1], v0
	v_cvt_f64_f32_e32 v[4:5], v4
	v_mul_f64 v[0:1], v[0:1], s[0:1]
	v_mul_f64 v[4:5], v[4:5], s[0:1]
	v_cvt_f32_f64_e32 v11, v[0:1]
	v_add_u32_e32 v0, 0x1c00, v152
	v_cvt_f32_f64_e32 v10, v[4:5]
	ds_read2_b64 v[4:7], v0 offset0:112 offset1:175
	v_mad_u64_u32 v[0:1], s[4:5], s8, v13, v[8:9]
	v_add_u32_e32 v1, s3, v1
	global_store_dwordx2 v[0:1], v[10:11], off
	s_waitcnt lgkmcnt(0)
	v_mul_f32_e32 v8, v187, v5
	v_fmac_f32_e32 v8, v186, v4
	v_mul_f32_e32 v4, v187, v4
	v_fma_f32 v4, v186, v5, -v4
	v_cvt_f64_f32_e32 v[8:9], v8
	v_cvt_f64_f32_e32 v[4:5], v4
	v_mul_f64 v[8:9], v[8:9], s[0:1]
	v_mul_f64 v[4:5], v[4:5], s[0:1]
	v_cvt_f32_f64_e32 v8, v[8:9]
	v_cvt_f32_f64_e32 v9, v[4:5]
	v_mad_u64_u32 v[0:1], s[4:5], s8, v12, v[0:1]
	v_mul_f32_e32 v4, v185, v3
	v_add_u32_e32 v1, s2, v1
	v_fmac_f32_e32 v4, v184, v2
	v_mul_f32_e32 v2, v185, v2
	global_store_dwordx2 v[0:1], v[8:9], off
	v_fma_f32 v2, v184, v3, -v2
	v_mad_u64_u32 v[8:9], s[4:5], s8, v13, v[0:1]
	v_mul_f32_e32 v0, v183, v7
	v_cvt_f64_f32_e32 v[4:5], v4
	v_cvt_f64_f32_e32 v[2:3], v2
	v_fmac_f32_e32 v0, v182, v6
	v_mul_f64 v[4:5], v[4:5], s[0:1]
	v_mul_f64 v[2:3], v[2:3], s[0:1]
	v_cvt_f64_f32_e32 v[0:1], v0
	v_cvt_f32_f64_e32 v4, v[4:5]
	v_cvt_f32_f64_e32 v5, v[2:3]
	v_add_u32_e32 v9, s3, v9
	v_mul_f64 v[0:1], v[0:1], s[0:1]
	global_store_dwordx2 v[8:9], v[4:5], off
	v_cvt_f32_f64_e32 v4, v[0:1]
	v_mul_f32_e32 v0, v183, v6
	v_fma_f32 v0, v182, v7, -v0
	v_cvt_f64_f32_e32 v[0:1], v0
	v_mul_f64 v[0:1], v[0:1], s[0:1]
	v_cvt_f32_f64_e32 v5, v[0:1]
	v_add_u32_e32 v0, 0xc00, v152
	ds_read2_b64 v[0:3], v0 offset0:120 offset1:183
	v_mad_u64_u32 v[8:9], s[4:5], s8, v12, v[8:9]
	v_add_u32_e32 v9, s2, v9
	global_store_dwordx2 v[8:9], v[4:5], off
	s_waitcnt lgkmcnt(0)
	v_mul_f32_e32 v4, v179, v1
	v_fmac_f32_e32 v4, v178, v0
	v_mul_f32_e32 v0, v179, v0
	v_fma_f32 v0, v178, v1, -v0
	v_cvt_f64_f32_e32 v[0:1], v0
	v_cvt_f64_f32_e32 v[4:5], v4
	v_mul_f64 v[0:1], v[0:1], s[0:1]
	v_mul_f64 v[4:5], v[4:5], s[0:1]
	v_cvt_f32_f64_e32 v11, v[0:1]
	v_add_u32_e32 v0, 0x2000, v152
	v_cvt_f32_f64_e32 v10, v[4:5]
	ds_read2_b64 v[4:7], v0 offset0:110 offset1:173
	v_mad_u64_u32 v[0:1], s[4:5], s8, v13, v[8:9]
	v_add_u32_e32 v1, s3, v1
	global_store_dwordx2 v[0:1], v[10:11], off
	v_accvgpr_read_b32 v10, a10
	v_accvgpr_read_b32 v11, a11
	s_waitcnt lgkmcnt(0)
	v_mul_f32_e32 v8, v11, v5
	v_fmac_f32_e32 v8, v10, v4
	v_mul_f32_e32 v4, v11, v4
	v_fma_f32 v4, v10, v5, -v4
	v_cvt_f64_f32_e32 v[8:9], v8
	v_cvt_f64_f32_e32 v[4:5], v4
	v_mul_f64 v[8:9], v[8:9], s[0:1]
	v_mul_f64 v[4:5], v[4:5], s[0:1]
	v_mad_u64_u32 v[0:1], s[4:5], s8, v12, v[0:1]
	v_cvt_f32_f64_e32 v8, v[8:9]
	v_cvt_f32_f64_e32 v9, v[4:5]
	v_add_u32_e32 v1, s2, v1
	global_store_dwordx2 v[0:1], v[8:9], off
	v_accvgpr_read_b32 v9, a1
	v_accvgpr_read_b32 v8, a0
	v_mul_f32_e32 v4, v9, v3
	v_fmac_f32_e32 v4, v8, v2
	v_mul_f32_e32 v2, v9, v2
	v_fma_f32 v2, v8, v3, -v2
	v_cvt_f64_f32_e32 v[4:5], v4
	v_cvt_f64_f32_e32 v[2:3], v2
	v_mul_f64 v[4:5], v[4:5], s[0:1]
	v_mul_f64 v[2:3], v[2:3], s[0:1]
	v_mad_u64_u32 v[0:1], s[4:5], s8, v13, v[0:1]
	v_cvt_f32_f64_e32 v4, v[4:5]
	v_cvt_f32_f64_e32 v5, v[2:3]
	v_add_u32_e32 v1, s3, v1
	global_store_dwordx2 v[0:1], v[4:5], off
	v_accvgpr_read_b32 v4, a6
	v_accvgpr_read_b32 v5, a7
	v_mul_f32_e32 v2, v5, v7
	v_fmac_f32_e32 v2, v4, v6
	v_cvt_f64_f32_e32 v[2:3], v2
	v_mul_f64 v[2:3], v[2:3], s[0:1]
	v_cvt_f32_f64_e32 v2, v[2:3]
	v_mul_f32_e32 v3, v5, v6
	v_fma_f32 v3, v4, v7, -v3
	v_cvt_f64_f32_e32 v[4:5], v3
	v_mul_f64 v[4:5], v[4:5], s[0:1]
	v_mad_u64_u32 v[0:1], s[0:1], s8, v12, v[0:1]
	v_cvt_f32_f64_e32 v3, v[4:5]
	v_add_u32_e32 v1, s2, v1
	global_store_dwordx2 v[0:1], v[2:3], off
.LBB0_28:
	s_endpgm
	.section	.rodata,"a",@progbits
	.p2align	6, 0x0
	.amdhsa_kernel bluestein_single_fwd_len1260_dim1_sp_op_CI_CI
		.amdhsa_group_segment_fixed_size 10080
		.amdhsa_private_segment_fixed_size 0
		.amdhsa_kernarg_size 104
		.amdhsa_user_sgpr_count 2
		.amdhsa_user_sgpr_dispatch_ptr 0
		.amdhsa_user_sgpr_queue_ptr 0
		.amdhsa_user_sgpr_kernarg_segment_ptr 1
		.amdhsa_user_sgpr_dispatch_id 0
		.amdhsa_user_sgpr_kernarg_preload_length 0
		.amdhsa_user_sgpr_kernarg_preload_offset 0
		.amdhsa_user_sgpr_private_segment_size 0
		.amdhsa_uses_dynamic_stack 0
		.amdhsa_enable_private_segment 0
		.amdhsa_system_sgpr_workgroup_id_x 1
		.amdhsa_system_sgpr_workgroup_id_y 0
		.amdhsa_system_sgpr_workgroup_id_z 0
		.amdhsa_system_sgpr_workgroup_info 0
		.amdhsa_system_vgpr_workitem_id 0
		.amdhsa_next_free_vgpr 314
		.amdhsa_next_free_sgpr 28
		.amdhsa_accum_offset 256
		.amdhsa_reserve_vcc 1
		.amdhsa_float_round_mode_32 0
		.amdhsa_float_round_mode_16_64 0
		.amdhsa_float_denorm_mode_32 3
		.amdhsa_float_denorm_mode_16_64 3
		.amdhsa_dx10_clamp 1
		.amdhsa_ieee_mode 1
		.amdhsa_fp16_overflow 0
		.amdhsa_tg_split 0
		.amdhsa_exception_fp_ieee_invalid_op 0
		.amdhsa_exception_fp_denorm_src 0
		.amdhsa_exception_fp_ieee_div_zero 0
		.amdhsa_exception_fp_ieee_overflow 0
		.amdhsa_exception_fp_ieee_underflow 0
		.amdhsa_exception_fp_ieee_inexact 0
		.amdhsa_exception_int_div_zero 0
	.end_amdhsa_kernel
	.text
.Lfunc_end0:
	.size	bluestein_single_fwd_len1260_dim1_sp_op_CI_CI, .Lfunc_end0-bluestein_single_fwd_len1260_dim1_sp_op_CI_CI
                                        ; -- End function
	.section	.AMDGPU.csdata,"",@progbits
; Kernel info:
; codeLenInByte = 23276
; NumSgprs: 34
; NumVgprs: 256
; NumAgprs: 58
; TotalNumVgprs: 314
; ScratchSize: 0
; MemoryBound: 0
; FloatMode: 240
; IeeeMode: 1
; LDSByteSize: 10080 bytes/workgroup (compile time only)
; SGPRBlocks: 4
; VGPRBlocks: 39
; NumSGPRsForWavesPerEU: 34
; NumVGPRsForWavesPerEU: 314
; AccumOffset: 256
; Occupancy: 1
; WaveLimiterHint : 1
; COMPUTE_PGM_RSRC2:SCRATCH_EN: 0
; COMPUTE_PGM_RSRC2:USER_SGPR: 2
; COMPUTE_PGM_RSRC2:TRAP_HANDLER: 0
; COMPUTE_PGM_RSRC2:TGID_X_EN: 1
; COMPUTE_PGM_RSRC2:TGID_Y_EN: 0
; COMPUTE_PGM_RSRC2:TGID_Z_EN: 0
; COMPUTE_PGM_RSRC2:TIDIG_COMP_CNT: 0
; COMPUTE_PGM_RSRC3_GFX90A:ACCUM_OFFSET: 63
; COMPUTE_PGM_RSRC3_GFX90A:TG_SPLIT: 0
	.text
	.p2alignl 6, 3212836864
	.fill 256, 4, 3212836864
	.type	__hip_cuid_56535c2dd80782b,@object ; @__hip_cuid_56535c2dd80782b
	.section	.bss,"aw",@nobits
	.globl	__hip_cuid_56535c2dd80782b
__hip_cuid_56535c2dd80782b:
	.byte	0                               ; 0x0
	.size	__hip_cuid_56535c2dd80782b, 1

	.ident	"AMD clang version 19.0.0git (https://github.com/RadeonOpenCompute/llvm-project roc-6.4.0 25133 c7fe45cf4b819c5991fe208aaa96edf142730f1d)"
	.section	".note.GNU-stack","",@progbits
	.addrsig
	.addrsig_sym __hip_cuid_56535c2dd80782b
	.amdgpu_metadata
---
amdhsa.kernels:
  - .agpr_count:     58
    .args:
      - .actual_access:  read_only
        .address_space:  global
        .offset:         0
        .size:           8
        .value_kind:     global_buffer
      - .actual_access:  read_only
        .address_space:  global
        .offset:         8
        .size:           8
        .value_kind:     global_buffer
      - .actual_access:  read_only
        .address_space:  global
        .offset:         16
        .size:           8
        .value_kind:     global_buffer
      - .actual_access:  read_only
        .address_space:  global
        .offset:         24
        .size:           8
        .value_kind:     global_buffer
      - .actual_access:  read_only
        .address_space:  global
        .offset:         32
        .size:           8
        .value_kind:     global_buffer
      - .offset:         40
        .size:           8
        .value_kind:     by_value
      - .address_space:  global
        .offset:         48
        .size:           8
        .value_kind:     global_buffer
      - .address_space:  global
        .offset:         56
        .size:           8
        .value_kind:     global_buffer
      - .address_space:  global
        .offset:         64
        .size:           8
        .value_kind:     global_buffer
      - .address_space:  global
        .offset:         72
        .size:           8
        .value_kind:     global_buffer
      - .offset:         80
        .size:           4
        .value_kind:     by_value
      - .address_space:  global
        .offset:         88
        .size:           8
        .value_kind:     global_buffer
      - .address_space:  global
        .offset:         96
        .size:           8
        .value_kind:     global_buffer
    .group_segment_fixed_size: 10080
    .kernarg_segment_align: 8
    .kernarg_segment_size: 104
    .language:       OpenCL C
    .language_version:
      - 2
      - 0
    .max_flat_workgroup_size: 63
    .name:           bluestein_single_fwd_len1260_dim1_sp_op_CI_CI
    .private_segment_fixed_size: 0
    .sgpr_count:     34
    .sgpr_spill_count: 0
    .symbol:         bluestein_single_fwd_len1260_dim1_sp_op_CI_CI.kd
    .uniform_work_group_size: 1
    .uses_dynamic_stack: false
    .vgpr_count:     314
    .vgpr_spill_count: 0
    .wavefront_size: 64
amdhsa.target:   amdgcn-amd-amdhsa--gfx950
amdhsa.version:
  - 1
  - 2
...

	.end_amdgpu_metadata
